;; amdgpu-corpus repo=huggingface/hf-rocm-kernels kind=compiled arch=gfx90a opt=O3
	.text
	.amdgcn_target "amdgcn-amd-amdhsa--gfx90a"
	.amdhsa_code_object_version 6
	.section	.text._Z24_residual_rms_vectorizedI7__half2Lb0EEvPK6__halfPS1_S3_PKfPT_S4_fii,"axG",@progbits,_Z24_residual_rms_vectorizedI7__half2Lb0EEvPK6__halfPS1_S3_PKfPT_S4_fii,comdat
	.protected	_Z24_residual_rms_vectorizedI7__half2Lb0EEvPK6__halfPS1_S3_PKfPT_S4_fii ; -- Begin function _Z24_residual_rms_vectorizedI7__half2Lb0EEvPK6__halfPS1_S3_PKfPT_S4_fii
	.globl	_Z24_residual_rms_vectorizedI7__half2Lb0EEvPK6__halfPS1_S3_PKfPT_S4_fii
	.p2align	8
	.type	_Z24_residual_rms_vectorizedI7__half2Lb0EEvPK6__halfPS1_S3_PKfPT_S4_fii,@function
_Z24_residual_rms_vectorizedI7__half2Lb0EEvPK6__halfPS1_S3_PKfPT_S4_fii: ; @_Z24_residual_rms_vectorizedI7__half2Lb0EEvPK6__halfPS1_S3_PKfPT_S4_fii
; %bb.0:
	s_load_dword s0, s[4:5], 0x4c
	s_load_dwordx2 s[14:15], s[4:5], 0x30
	s_load_dwordx4 s[8:11], s[4:5], 0x8
	s_load_dwordx2 s[12:13], s[4:5], 0x20
	v_lshlrev_b32_e32 v1, 3, v0
	s_waitcnt lgkmcnt(0)
	s_and_b32 s20, s0, 0xffff
	s_lshl_b32 s0, s20, 3
	v_cvt_f32_u32_e32 v3, s0
	s_add_i32 s1, s0, s15
	v_xad_u32 v5, v1, -1, s1
	s_sub_i32 s1, 0, s0
	v_rcp_iflag_f32_e32 v4, v3
	s_mul_i32 s6, s6, s15
	v_add_u32_e32 v2, s6, v1
	v_mov_b32_e32 v3, 0
	v_mul_f32_e32 v4, 0x4f7ffffe, v4
	v_cvt_u32_f32_e32 v4, v4
	v_lshlrev_b32_e32 v6, 4, v0
	s_mov_b32 s21, 0
	v_mul_lo_u32 v7, s1, v4
	v_mul_hi_u32 v7, v4, v7
	v_add_u32_e32 v4, v4, v7
	v_mul_hi_u32 v4, v5, v4
	v_mul_lo_u32 v7, v4, s0
	v_sub_u32_e32 v5, v5, v7
	v_add_u32_e32 v7, 1, v4
	v_cmp_le_u32_e32 vcc, s0, v5
	v_cndmask_b32_e32 v4, v4, v7, vcc
	v_subrev_u32_e32 v7, s0, v5
	v_cndmask_b32_e32 v5, v5, v7, vcc
	v_add_u32_e32 v7, 1, v4
	v_cmp_le_u32_e32 vcc, s0, v5
	v_cndmask_b32_e32 v7, v4, v7, vcc
	v_cmp_lt_i32_e64 s[0:1], 0, v7
	v_lshlrev_b64 v[4:5], 1, v[2:3]
	s_and_saveexec_b64 s[6:7], s[0:1]
	s_cbranch_execz .LBB0_4
; %bb.1:
	s_load_dwordx2 s[4:5], s[4:5], 0x0
	s_lshl_b32 s22, s20, 4
	s_mov_b64 s[16:17], 0
	v_mov_b32_e32 v3, 0
	s_mov_b64 s[18:19], s[8:9]
	v_mov_b32_e32 v8, v6
.LBB0_2:                                ; =>This Inner Loop Header: Depth=1
	s_waitcnt lgkmcnt(0)
	v_mov_b32_e32 v9, s5
	v_add_co_u32_e64 v20, s[2:3], s4, v4
	v_mov_b32_e32 v10, s19
	v_add_co_u32_e32 v18, vcc, s18, v4
	v_addc_co_u32_e64 v21, s[2:3], v9, v5, s[2:3]
	v_addc_co_u32_e32 v19, vcc, v10, v5, vcc
	global_load_dwordx4 v[10:13], v[20:21], off
	global_load_dwordx4 v[14:17], v[18:19], off
	s_add_i32 s21, s21, 1
	s_add_u32 s4, s4, s22
	s_addc_u32 s5, s5, 0
	s_add_u32 s18, s18, s22
	v_cmp_ge_i32_e32 vcc, s21, v7
	s_addc_u32 s19, s19, 0
	s_or_b64 s[16:17], vcc, s[16:17]
	s_waitcnt vmcnt(0)
	v_pk_add_f16 v10, v10, v14
	v_pk_add_f16 v11, v11, v15
	v_cvt_f32_f16_e32 v14, v10
	v_cvt_f32_f16_sdwa v15, v10 dst_sel:DWORD dst_unused:UNUSED_PAD src0_sel:WORD_1
	v_pk_add_f16 v12, v12, v16
	v_pk_add_f16 v13, v13, v17
	v_cvt_f32_f16_e32 v16, v11
	v_cvt_f32_f16_sdwa v17, v11 dst_sel:DWORD dst_unused:UNUSED_PAD src0_sel:WORD_1
	v_cvt_f32_f16_e32 v18, v12
	v_cvt_f32_f16_sdwa v19, v12 dst_sel:DWORD dst_unused:UNUSED_PAD src0_sel:WORD_1
	ds_write_b128 v8, v[10:13]
	v_pk_mul_f32 v[10:11], v[14:15], v[14:15]
	v_add_f32_e32 v3, v3, v10
	v_cvt_f32_f16_e32 v20, v13
	v_cvt_f32_f16_sdwa v21, v13 dst_sel:DWORD dst_unused:UNUSED_PAD src0_sel:WORD_1
	v_pk_mul_f32 v[12:13], v[16:17], v[16:17]
	v_add_f32_e32 v3, v3, v11
	v_add_f32_e32 v3, v3, v12
	v_pk_mul_f32 v[14:15], v[18:19], v[18:19]
	v_add_f32_e32 v3, v3, v13
	v_add_f32_e32 v3, v3, v14
	;; [unrolled: 3-line block ×3, first 2 shown]
	v_add_u32_e32 v8, s22, v8
	v_add_f32_e32 v3, v3, v17
	s_andn2_b64 exec, exec, s[16:17]
	s_cbranch_execnz .LBB0_2
; %bb.3:
	s_or_b64 exec, exec, s[16:17]
.LBB0_4:
	s_or_b64 exec, exec, s[6:7]
	v_cvt_f32_i32_e32 v9, s15
	v_mbcnt_lo_u32_b32 v8, -1, 0
	v_mbcnt_hi_u32_b32 v8, -1, v8
	v_div_scale_f32 v10, s[2:3], v9, v9, v3
	v_rcp_f32_e32 v11, v10
	v_div_scale_f32 v12, vcc, v3, v9, v3
	v_fma_f32 v13, -v10, v11, 1.0
	v_fmac_f32_e32 v11, v13, v11
	v_mul_f32_e32 v13, v12, v11
	v_fma_f32 v14, -v10, v13, v12
	v_fmac_f32_e32 v13, v14, v11
	v_fma_f32 v10, -v10, v13, v12
	v_div_fmas_f32 v10, v10, v11, v13
	v_div_fixup_f32 v3, v10, v9, v3
	v_and_b32_e32 v9, 63, v8
	v_cmp_ne_u32_e32 vcc, 63, v9
	v_addc_co_u32_e32 v10, vcc, 0, v8, vcc
	v_lshlrev_b32_e32 v10, 2, v10
	ds_bpermute_b32 v10, v10, v3
	v_and_b32_e32 v11, 0x3c0, v0
	v_sub_u32_e64 v11, s20, v11 clamp
	v_add_u32_e32 v12, 1, v8
	v_cmp_lt_u32_e32 vcc, v12, v11
	s_waitcnt lgkmcnt(0)
	v_add_f32_e32 v10, v3, v10
	v_cndmask_b32_e32 v3, v3, v10, vcc
	v_cmp_gt_u32_e32 vcc, 62, v9
	v_cndmask_b32_e64 v10, 0, 1, vcc
	v_lshlrev_b32_e32 v10, 1, v10
	v_add_lshl_u32 v10, v10, v8, 2
	ds_bpermute_b32 v10, v10, v3
	v_add_u32_e32 v12, 2, v8
	v_cmp_lt_u32_e32 vcc, v12, v11
	v_add_u32_e32 v12, 4, v8
	s_waitcnt lgkmcnt(0)
	v_add_f32_e32 v10, v3, v10
	v_cndmask_b32_e32 v3, v3, v10, vcc
	v_cmp_gt_u32_e32 vcc, 60, v9
	v_cndmask_b32_e64 v10, 0, 1, vcc
	v_lshlrev_b32_e32 v10, 2, v10
	v_add_lshl_u32 v10, v10, v8, 2
	ds_bpermute_b32 v10, v10, v3
	v_cmp_lt_u32_e32 vcc, v12, v11
	v_add_u32_e32 v12, 8, v8
	s_waitcnt lgkmcnt(0)
	v_add_f32_e32 v10, v3, v10
	v_cndmask_b32_e32 v3, v3, v10, vcc
	v_cmp_gt_u32_e32 vcc, 56, v9
	v_cndmask_b32_e64 v10, 0, 1, vcc
	v_lshlrev_b32_e32 v10, 3, v10
	v_add_lshl_u32 v10, v10, v8, 2
	ds_bpermute_b32 v10, v10, v3
	;; [unrolled: 10-line block ×3, first 2 shown]
	v_cmp_lt_u32_e32 vcc, v12, v11
	s_waitcnt lgkmcnt(0)
	v_add_f32_e32 v10, v3, v10
	v_cndmask_b32_e32 v3, v3, v10, vcc
	v_cmp_gt_u32_e32 vcc, 32, v9
	v_cndmask_b32_e64 v9, 0, 1, vcc
	v_lshlrev_b32_e32 v9, 5, v9
	v_add_lshl_u32 v9, v9, v8, 2
	ds_bpermute_b32 v9, v9, v3
	v_add_u32_e32 v10, 32, v8
	v_cmp_lt_u32_e32 vcc, v10, v11
	s_waitcnt lgkmcnt(0)
	v_add_f32_e32 v9, v3, v9
	v_cndmask_b32_e32 v3, v3, v9, vcc
	v_cmp_eq_u32_e32 vcc, 0, v8
	s_and_saveexec_b64 s[2:3], vcc
	s_cbranch_execz .LBB0_6
; %bb.5:
	v_lshrrev_b32_e32 v9, 4, v0
	v_and_b32_e32 v9, 60, v9
	ds_write_b32 v9, v3 offset:32768
.LBB0_6:
	s_or_b64 exec, exec, s[2:3]
	v_cmp_gt_u32_e32 vcc, 16, v0
	s_waitcnt lgkmcnt(0)
	s_barrier
	s_and_saveexec_b64 s[4:5], vcc
	s_cbranch_execz .LBB0_8
; %bb.7:
	v_lshlrev_b32_e32 v3, 2, v8
	ds_read_b32 v3, v3 offset:32768
	v_and_b32_e32 v9, 15, v8
	v_cmp_ne_u32_e32 vcc, 15, v9
	v_addc_co_u32_e32 v10, vcc, 0, v8, vcc
	v_lshlrev_b32_e32 v10, 2, v10
	s_waitcnt lgkmcnt(0)
	ds_bpermute_b32 v10, v10, v3
	s_add_i32 s2, s20, 63
	s_lshr_b32 s6, s2, 6
	v_add_u32_e32 v11, 1, v9
	v_cmp_gt_u32_e64 s[2:3], 14, v9
	v_cmp_gt_u32_e32 vcc, s6, v11
	v_cndmask_b32_e64 v11, 0, 1, s[2:3]
	s_waitcnt lgkmcnt(0)
	v_add_f32_e32 v10, v3, v10
	v_lshlrev_b32_e32 v11, 1, v11
	v_cndmask_b32_e32 v10, v3, v10, vcc
	v_add_lshl_u32 v11, v11, v8, 2
	ds_bpermute_b32 v11, v11, v10
	v_add_u32_e32 v12, 2, v9
	v_cmp_gt_u32_e64 s[2:3], s6, v12
	v_add_u32_e32 v12, 4, v9
	s_waitcnt lgkmcnt(0)
	v_add_f32_e32 v11, v10, v11
	v_cndmask_b32_e64 v10, v10, v11, s[2:3]
	v_cmp_gt_u32_e64 s[2:3], 12, v9
	v_cndmask_b32_e64 v11, 0, 1, s[2:3]
	v_lshlrev_b32_e32 v11, 2, v11
	v_add_lshl_u32 v11, v11, v8, 2
	ds_bpermute_b32 v11, v11, v10
	v_cmp_gt_u32_e64 s[2:3], s6, v12
	s_waitcnt lgkmcnt(0)
	v_add_f32_e32 v11, v10, v11
	v_cndmask_b32_e64 v10, v10, v11, s[2:3]
	v_cmp_gt_u32_e64 s[2:3], 8, v9
	v_cndmask_b32_e64 v11, 0, 1, s[2:3]
	v_lshlrev_b32_e32 v11, 3, v11
	v_add_lshl_u32 v8, v11, v8, 2
	ds_bpermute_b32 v8, v8, v10
	v_add_u32_e32 v9, 8, v9
	v_cmp_gt_u32_e64 s[2:3], s6, v9
	s_waitcnt lgkmcnt(0)
	v_add_f32_e32 v8, v10, v8
	v_cndmask_b32_e64 v8, v10, v8, s[2:3]
	v_cndmask_b32_e32 v3, v3, v8, vcc
.LBB0_8:
	s_or_b64 exec, exec, s[4:5]
	v_cmp_eq_u32_e32 vcc, 0, v0
	s_and_saveexec_b64 s[2:3], vcc
	s_cbranch_execz .LBB0_10
; %bb.9:
	v_add_f32_e32 v0, s14, v3
	s_mov_b32 s4, 0x800000
	v_mul_f32_e32 v3, 0x4b800000, v0
	v_cmp_gt_f32_e32 vcc, s4, v0
	v_cndmask_b32_e32 v0, v0, v3, vcc
	v_rsq_f32_e32 v0, v0
	v_mul_f32_e32 v3, 0x45800000, v0
	v_cndmask_b32_e32 v0, v0, v3, vcc
	v_mov_b32_e32 v3, 0
	ds_write_b32 v3, v0 offset:32832
.LBB0_10:
	s_or_b64 exec, exec, s[2:3]
	s_waitcnt lgkmcnt(0)
	s_barrier
	s_and_saveexec_b64 s[2:3], s[0:1]
	s_cbranch_execz .LBB0_13
; %bb.11:
	v_lshlrev_b32_e32 v0, 1, v1
	v_mov_b32_e32 v1, 0
	v_mov_b32_e32 v8, s11
	v_add_co_u32_e32 v3, vcc, s10, v0
	v_lshrrev_b32_e32 v0, 1, v2
	v_addc_co_u32_e32 v8, vcc, 0, v8, vcc
	v_lshlrev_b64 v[10:11], 2, v[0:1]
	v_mov_b32_e32 v9, s13
	ds_read_b32 v0, v1 offset:32832
	v_add_co_u32_e32 v2, vcc, s12, v10
	v_addc_co_u32_e32 v9, vcc, v9, v11, vcc
	v_mov_b32_e32 v10, s9
	v_add_co_u32_e32 v4, vcc, s8, v4
	v_addc_co_u32_e32 v5, vcc, v5, v10, vcc
	v_add_co_u32_e32 v4, vcc, 8, v4
	s_mov_b32 s6, 0
	s_waitcnt lgkmcnt(0)
	v_mov_b32_e32 v1, v0
	s_lshl_b32 s7, s20, 4
	v_addc_co_u32_e32 v5, vcc, 0, v5, vcc
	s_mov_b64 s[2:3], 0
	s_mov_b64 s[4:5], 0
.LBB0_12:                               ; =>This Inner Loop Header: Depth=1
	v_mov_b32_e32 v19, s5
	v_add_co_u32_e32 v10, vcc, s4, v3
	v_addc_co_u32_e32 v11, vcc, v8, v19, vcc
	global_load_dwordx4 v[10:13], v[10:11], off
	ds_read_b128 v[14:17], v6
	v_add_co_u32_e64 v20, s[0:1], s4, v4
	v_addc_co_u32_e64 v21, s[0:1], v5, v19, s[0:1]
	s_waitcnt lgkmcnt(0)
	global_store_dwordx4 v[20:21], v[14:17], off offset:-8
	v_cvt_f32_f16_sdwa v21, v14 dst_sel:DWORD dst_unused:UNUSED_PAD src0_sel:WORD_1
	v_cvt_f32_f16_e32 v20, v14
	v_cvt_f32_f16_sdwa v23, v15 dst_sel:DWORD dst_unused:UNUSED_PAD src0_sel:WORD_1
	v_cvt_f32_f16_e32 v22, v15
	;; [unrolled: 2-line block ×4, first 2 shown]
	v_pk_mul_f32 v[16:17], v[0:1], v[20:21]
	v_pk_mul_f32 v[20:21], v[0:1], v[22:23]
	;; [unrolled: 1-line block ×4, first 2 shown]
	v_cvt_f16_f32_e32 v16, v16
	v_cvt_f16_f32_e32 v17, v17
	v_cvt_f16_f32_e32 v20, v20
	v_cvt_f16_f32_e32 v21, v21
	v_cvt_f16_f32_e32 v14, v14
	v_cvt_f16_f32_e32 v15, v15
	v_cvt_f16_f32_e32 v22, v22
	v_cvt_f16_f32_e32 v23, v23
	v_add_co_u32_e32 v18, vcc, s4, v2
	s_add_i32 s6, s6, 1
	v_addc_co_u32_e32 v19, vcc, v9, v19, vcc
	s_add_u32 s4, s4, s7
	v_cmp_ge_i32_e32 vcc, s6, v7
	s_addc_u32 s5, s5, 0
	v_pack_b32_f16 v16, v16, v17
	v_pack_b32_f16 v17, v20, v21
	;; [unrolled: 1-line block ×4, first 2 shown]
	v_add_u32_e32 v6, s7, v6
	s_or_b64 s[2:3], vcc, s[2:3]
	s_waitcnt vmcnt(1)
	v_pk_mul_f16 v10, v10, v16
	v_pk_mul_f16 v11, v11, v17
	;; [unrolled: 1-line block ×4, first 2 shown]
	global_store_dwordx4 v[18:19], v[10:13], off
	s_andn2_b64 exec, exec, s[2:3]
	s_cbranch_execnz .LBB0_12
.LBB0_13:
	s_endpgm
	.section	.rodata,"a",@progbits
	.p2align	6, 0x0
	.amdhsa_kernel _Z24_residual_rms_vectorizedI7__half2Lb0EEvPK6__halfPS1_S3_PKfPT_S4_fii
		.amdhsa_group_segment_fixed_size 32836
		.amdhsa_private_segment_fixed_size 0
		.amdhsa_kernarg_size 320
		.amdhsa_user_sgpr_count 6
		.amdhsa_user_sgpr_private_segment_buffer 1
		.amdhsa_user_sgpr_dispatch_ptr 0
		.amdhsa_user_sgpr_queue_ptr 0
		.amdhsa_user_sgpr_kernarg_segment_ptr 1
		.amdhsa_user_sgpr_dispatch_id 0
		.amdhsa_user_sgpr_flat_scratch_init 0
		.amdhsa_user_sgpr_kernarg_preload_length 0
		.amdhsa_user_sgpr_kernarg_preload_offset 0
		.amdhsa_user_sgpr_private_segment_size 0
		.amdhsa_uses_dynamic_stack 0
		.amdhsa_system_sgpr_private_segment_wavefront_offset 0
		.amdhsa_system_sgpr_workgroup_id_x 1
		.amdhsa_system_sgpr_workgroup_id_y 0
		.amdhsa_system_sgpr_workgroup_id_z 0
		.amdhsa_system_sgpr_workgroup_info 0
		.amdhsa_system_vgpr_workitem_id 0
		.amdhsa_next_free_vgpr 26
		.amdhsa_next_free_sgpr 23
		.amdhsa_accum_offset 28
		.amdhsa_reserve_vcc 1
		.amdhsa_reserve_flat_scratch 0
		.amdhsa_float_round_mode_32 0
		.amdhsa_float_round_mode_16_64 0
		.amdhsa_float_denorm_mode_32 3
		.amdhsa_float_denorm_mode_16_64 3
		.amdhsa_dx10_clamp 1
		.amdhsa_ieee_mode 1
		.amdhsa_fp16_overflow 0
		.amdhsa_tg_split 0
		.amdhsa_exception_fp_ieee_invalid_op 0
		.amdhsa_exception_fp_denorm_src 0
		.amdhsa_exception_fp_ieee_div_zero 0
		.amdhsa_exception_fp_ieee_overflow 0
		.amdhsa_exception_fp_ieee_underflow 0
		.amdhsa_exception_fp_ieee_inexact 0
		.amdhsa_exception_int_div_zero 0
	.end_amdhsa_kernel
	.section	.text._Z24_residual_rms_vectorizedI7__half2Lb0EEvPK6__halfPS1_S3_PKfPT_S4_fii,"axG",@progbits,_Z24_residual_rms_vectorizedI7__half2Lb0EEvPK6__halfPS1_S3_PKfPT_S4_fii,comdat
.Lfunc_end0:
	.size	_Z24_residual_rms_vectorizedI7__half2Lb0EEvPK6__halfPS1_S3_PKfPT_S4_fii, .Lfunc_end0-_Z24_residual_rms_vectorizedI7__half2Lb0EEvPK6__halfPS1_S3_PKfPT_S4_fii
                                        ; -- End function
	.section	.AMDGPU.csdata,"",@progbits
; Kernel info:
; codeLenInByte = 1692
; NumSgprs: 27
; NumVgprs: 26
; NumAgprs: 0
; TotalNumVgprs: 26
; ScratchSize: 0
; MemoryBound: 0
; FloatMode: 240
; IeeeMode: 1
; LDSByteSize: 32836 bytes/workgroup (compile time only)
; SGPRBlocks: 3
; VGPRBlocks: 3
; NumSGPRsForWavesPerEU: 27
; NumVGPRsForWavesPerEU: 26
; AccumOffset: 28
; Occupancy: 4
; WaveLimiterHint : 0
; COMPUTE_PGM_RSRC2:SCRATCH_EN: 0
; COMPUTE_PGM_RSRC2:USER_SGPR: 6
; COMPUTE_PGM_RSRC2:TRAP_HANDLER: 0
; COMPUTE_PGM_RSRC2:TGID_X_EN: 1
; COMPUTE_PGM_RSRC2:TGID_Y_EN: 0
; COMPUTE_PGM_RSRC2:TGID_Z_EN: 0
; COMPUTE_PGM_RSRC2:TIDIG_COMP_CNT: 0
; COMPUTE_PGM_RSRC3_GFX90A:ACCUM_OFFSET: 6
; COMPUTE_PGM_RSRC3_GFX90A:TG_SPLIT: 0
	.section	.text._Z20_residual_rms_scalarI6__halfLb0EEvPKS0_PS0_S2_PKfPT_S3_fii,"axG",@progbits,_Z20_residual_rms_scalarI6__halfLb0EEvPKS0_PS0_S2_PKfPT_S3_fii,comdat
	.protected	_Z20_residual_rms_scalarI6__halfLb0EEvPKS0_PS0_S2_PKfPT_S3_fii ; -- Begin function _Z20_residual_rms_scalarI6__halfLb0EEvPKS0_PS0_S2_PKfPT_S3_fii
	.globl	_Z20_residual_rms_scalarI6__halfLb0EEvPKS0_PS0_S2_PKfPT_S3_fii
	.p2align	8
	.type	_Z20_residual_rms_scalarI6__halfLb0EEvPKS0_PS0_S2_PKfPT_S3_fii,@function
_Z20_residual_rms_scalarI6__halfLb0EEvPKS0_PS0_S2_PKfPT_S3_fii: ; @_Z20_residual_rms_scalarI6__halfLb0EEvPKS0_PS0_S2_PKfPT_S3_fii
; %bb.0:
	s_load_dwordx2 s[8:9], s[4:5], 0x30
	s_load_dwordx2 s[0:1], s[4:5], 0x8
	s_mov_b32 s17, 0
                                        ; implicit-def: $sgpr19
	s_waitcnt lgkmcnt(0)
	s_mul_i32 s16, s6, s9
	s_lshl_b64 s[10:11], s[16:17], 1
	s_add_u32 s16, s0, s10
	s_addc_u32 s18, s1, s11
	s_add_u32 s14, s4, 64
	v_cmp_gt_i32_e64 s[0:1], s9, v0
	v_cmp_le_i32_e32 vcc, s9, v0
	s_addc_u32 s15, s5, 0
	s_and_saveexec_b64 s[2:3], vcc
	s_xor_b64 s[2:3], exec, s[2:3]
	s_cbranch_execz .LBB1_2
; %bb.1:
	s_load_dword s6, s[14:15], 0xc
	s_waitcnt lgkmcnt(0)
	s_and_b32 s19, s6, 0xffff
.LBB1_2:
	s_or_saveexec_b64 s[2:3], s[2:3]
	s_load_dwordx2 s[6:7], s[4:5], 0x10
	s_load_dwordx2 s[12:13], s[4:5], 0x20
	v_mov_b32_e32 v4, s17
	v_mov_b32_e32 v2, s19
	s_xor_b64 exec, exec, s[2:3]
	s_cbranch_execz .LBB1_6
; %bb.3:
	s_load_dwordx2 s[20:21], s[4:5], 0x0
	s_load_dword s17, s[14:15], 0xc
	s_mov_b64 s[4:5], 0
	v_mov_b32_e32 v4, 0
	v_mov_b32_e32 v5, s18
	s_waitcnt lgkmcnt(0)
	s_add_u32 s15, s20, s10
	s_addc_u32 s19, s21, s11
	s_and_b32 s14, s17, 0xffff
	v_mov_b32_e32 v1, s19
	v_mov_b32_e32 v2, v0
.LBB1_4:                                ; =>This Inner Loop Header: Depth=1
	v_ashrrev_i32_e32 v3, 31, v2
	v_lshlrev_b64 v[6:7], 1, v[2:3]
	v_add_co_u32_e32 v8, vcc, s15, v6
	v_addc_co_u32_e32 v9, vcc, v1, v7, vcc
	v_add_co_u32_e32 v6, vcc, s16, v6
	v_addc_co_u32_e32 v7, vcc, v5, v7, vcc
	global_load_ushort v3, v[8:9], off
	v_add_u32_e32 v2, s14, v2
	global_load_ushort v8, v[6:7], off
	v_cmp_le_i32_e32 vcc, s9, v2
	s_or_b64 s[4:5], vcc, s[4:5]
	s_waitcnt vmcnt(0)
	v_add_f16_e32 v3, v3, v8
	v_fma_mix_f32 v4, v3, v3, v4 op_sel_hi:[1,1,0]
	global_store_short v[6:7], v3, off
	s_andn2_b64 exec, exec, s[4:5]
	s_cbranch_execnz .LBB1_4
; %bb.5:
	s_or_b64 exec, exec, s[4:5]
	v_mov_b32_e32 v2, s14
.LBB1_6:
	s_or_b64 exec, exec, s[2:3]
	v_cvt_f32_i32_e32 v3, s9
	v_mbcnt_lo_u32_b32 v1, -1, 0
	v_mbcnt_hi_u32_b32 v1, -1, v1
	v_div_scale_f32 v5, s[2:3], v3, v3, v4
	v_rcp_f32_e32 v6, v5
	v_div_scale_f32 v7, vcc, v4, v3, v4
	v_fma_f32 v8, -v5, v6, 1.0
	v_fmac_f32_e32 v6, v8, v6
	v_mul_f32_e32 v8, v7, v6
	v_fma_f32 v9, -v5, v8, v7
	v_fmac_f32_e32 v8, v9, v6
	v_fma_f32 v5, -v5, v8, v7
	v_div_fmas_f32 v5, v5, v6, v8
	v_div_fixup_f32 v3, v5, v3, v4
	v_and_b32_e32 v4, 63, v1
	v_cmp_ne_u32_e32 vcc, 63, v4
	v_addc_co_u32_e32 v5, vcc, 0, v1, vcc
	v_lshlrev_b32_e32 v5, 2, v5
	ds_bpermute_b32 v5, v5, v3
	v_and_b32_e32 v6, 0x3c0, v0
	v_sub_u32_e64 v6, v2, v6 clamp
	v_add_u32_e32 v7, 1, v1
	v_cmp_lt_u32_e32 vcc, v7, v6
	s_waitcnt lgkmcnt(0)
	v_add_f32_e32 v5, v3, v5
	v_cndmask_b32_e32 v3, v3, v5, vcc
	v_cmp_gt_u32_e32 vcc, 62, v4
	v_cndmask_b32_e64 v5, 0, 1, vcc
	v_lshlrev_b32_e32 v5, 1, v5
	v_add_lshl_u32 v5, v5, v1, 2
	ds_bpermute_b32 v5, v5, v3
	v_add_u32_e32 v7, 2, v1
	v_cmp_lt_u32_e32 vcc, v7, v6
	v_add_u32_e32 v7, 4, v1
	s_waitcnt lgkmcnt(0)
	v_add_f32_e32 v5, v3, v5
	v_cndmask_b32_e32 v3, v3, v5, vcc
	v_cmp_gt_u32_e32 vcc, 60, v4
	v_cndmask_b32_e64 v5, 0, 1, vcc
	v_lshlrev_b32_e32 v5, 2, v5
	v_add_lshl_u32 v5, v5, v1, 2
	ds_bpermute_b32 v5, v5, v3
	v_cmp_lt_u32_e32 vcc, v7, v6
	v_add_u32_e32 v7, 8, v1
	s_waitcnt lgkmcnt(0)
	v_add_f32_e32 v5, v3, v5
	v_cndmask_b32_e32 v3, v3, v5, vcc
	v_cmp_gt_u32_e32 vcc, 56, v4
	v_cndmask_b32_e64 v5, 0, 1, vcc
	v_lshlrev_b32_e32 v5, 3, v5
	v_add_lshl_u32 v5, v5, v1, 2
	ds_bpermute_b32 v5, v5, v3
	;; [unrolled: 10-line block ×3, first 2 shown]
	v_cmp_lt_u32_e32 vcc, v7, v6
	s_waitcnt lgkmcnt(0)
	v_add_f32_e32 v5, v3, v5
	v_cndmask_b32_e32 v3, v3, v5, vcc
	v_cmp_gt_u32_e32 vcc, 32, v4
	v_cndmask_b32_e64 v4, 0, 1, vcc
	v_lshlrev_b32_e32 v4, 5, v4
	v_add_lshl_u32 v4, v4, v1, 2
	ds_bpermute_b32 v4, v4, v3
	v_add_u32_e32 v5, 32, v1
	v_cmp_lt_u32_e32 vcc, v5, v6
	s_waitcnt lgkmcnt(0)
	v_add_f32_e32 v4, v3, v4
	v_cndmask_b32_e32 v3, v3, v4, vcc
	v_cmp_eq_u32_e32 vcc, 0, v1
	s_and_saveexec_b64 s[2:3], vcc
	s_cbranch_execz .LBB1_8
; %bb.7:
	v_lshrrev_b32_e32 v4, 4, v0
	v_and_b32_e32 v4, 60, v4
	ds_write_b32 v4, v3
.LBB1_8:
	s_or_b64 exec, exec, s[2:3]
	v_cmp_gt_u32_e32 vcc, 16, v0
	s_waitcnt lgkmcnt(0)
	s_barrier
	s_and_saveexec_b64 s[4:5], vcc
	s_cbranch_execz .LBB1_10
; %bb.9:
	v_lshlrev_b32_e32 v3, 2, v1
	ds_read_b32 v3, v3
	v_and_b32_e32 v4, 15, v1
	v_cmp_ne_u32_e32 vcc, 15, v4
	v_addc_co_u32_e32 v5, vcc, 0, v1, vcc
	v_lshlrev_b32_e32 v5, 2, v5
	s_waitcnt lgkmcnt(0)
	ds_bpermute_b32 v5, v5, v3
	v_add_u32_e32 v6, 63, v2
	v_lshrrev_b32_e32 v6, 6, v6
	v_add_u32_e32 v7, 1, v4
	v_cmp_gt_u32_e64 s[2:3], 14, v4
	v_cmp_lt_u32_e32 vcc, v7, v6
	v_cndmask_b32_e64 v7, 0, 1, s[2:3]
	s_waitcnt lgkmcnt(0)
	v_add_f32_e32 v5, v3, v5
	v_lshlrev_b32_e32 v7, 1, v7
	v_cndmask_b32_e32 v5, v3, v5, vcc
	v_add_lshl_u32 v7, v7, v1, 2
	ds_bpermute_b32 v7, v7, v5
	v_add_u32_e32 v8, 2, v4
	v_cmp_lt_u32_e64 s[2:3], v8, v6
	v_add_u32_e32 v8, 4, v4
	s_waitcnt lgkmcnt(0)
	v_add_f32_e32 v7, v5, v7
	v_cndmask_b32_e64 v5, v5, v7, s[2:3]
	v_cmp_gt_u32_e64 s[2:3], 12, v4
	v_cndmask_b32_e64 v7, 0, 1, s[2:3]
	v_lshlrev_b32_e32 v7, 2, v7
	v_add_lshl_u32 v7, v7, v1, 2
	ds_bpermute_b32 v7, v7, v5
	v_cmp_lt_u32_e64 s[2:3], v8, v6
	s_waitcnt lgkmcnt(0)
	v_add_f32_e32 v7, v5, v7
	v_cndmask_b32_e64 v5, v5, v7, s[2:3]
	v_cmp_gt_u32_e64 s[2:3], 8, v4
	v_cndmask_b32_e64 v7, 0, 1, s[2:3]
	v_lshlrev_b32_e32 v7, 3, v7
	v_add_lshl_u32 v1, v7, v1, 2
	ds_bpermute_b32 v1, v1, v5
	v_add_u32_e32 v4, 8, v4
	v_cmp_lt_u32_e64 s[2:3], v4, v6
	s_waitcnt lgkmcnt(0)
	v_add_f32_e32 v1, v5, v1
	v_cndmask_b32_e64 v1, v5, v1, s[2:3]
	v_cndmask_b32_e32 v3, v3, v1, vcc
.LBB1_10:
	s_or_b64 exec, exec, s[4:5]
	v_cmp_eq_u32_e32 vcc, 0, v0
	s_and_saveexec_b64 s[2:3], vcc
	s_cbranch_execz .LBB1_12
; %bb.11:
	v_add_f32_e32 v1, s8, v3
	s_mov_b32 s4, 0x800000
	v_mul_f32_e32 v3, 0x4b800000, v1
	v_cmp_gt_f32_e32 vcc, s4, v1
	v_cndmask_b32_e32 v1, v1, v3, vcc
	v_rsq_f32_e32 v1, v1
	v_mul_f32_e32 v3, 0x45800000, v1
	v_cndmask_b32_e32 v1, v1, v3, vcc
	v_mov_b32_e32 v3, 0
	ds_write_b32 v3, v1 offset:64
.LBB1_12:
	s_or_b64 exec, exec, s[2:3]
	s_waitcnt lgkmcnt(0)
	s_barrier
	s_and_saveexec_b64 s[2:3], s[0:1]
	s_cbranch_execz .LBB1_15
; %bb.13:
	v_mov_b32_e32 v1, 0
	ds_read_b32 v3, v1 offset:64
	s_add_u32 s2, s12, s10
	s_addc_u32 s3, s13, s11
	s_mov_b64 s[0:1], 0
	v_mov_b32_e32 v4, s18
	v_mov_b32_e32 v5, s7
	;; [unrolled: 1-line block ×3, first 2 shown]
.LBB1_14:                               ; =>This Inner Loop Header: Depth=1
	v_ashrrev_i32_e32 v1, 31, v0
	v_lshlrev_b64 v[8:9], 1, v[0:1]
	v_add_co_u32_e32 v10, vcc, s16, v8
	v_addc_co_u32_e32 v11, vcc, v4, v9, vcc
	global_load_ushort v1, v[10:11], off
	v_add_co_u32_e32 v10, vcc, s6, v8
	v_addc_co_u32_e32 v11, vcc, v5, v9, vcc
	global_load_ushort v7, v[10:11], off
	v_add_co_u32_e32 v8, vcc, s2, v8
	v_add_u32_e32 v0, v0, v2
	v_addc_co_u32_e32 v9, vcc, v6, v9, vcc
	v_cmp_le_i32_e32 vcc, s9, v0
	s_or_b64 s[0:1], vcc, s[0:1]
	s_waitcnt vmcnt(1) lgkmcnt(0)
	v_fma_mixlo_f16 v1, v3, v1, 0 op_sel_hi:[0,1,0]
	s_waitcnt vmcnt(0)
	v_mul_f16_e32 v1, v7, v1
	global_store_short v[8:9], v1, off
	s_andn2_b64 exec, exec, s[0:1]
	s_cbranch_execnz .LBB1_14
.LBB1_15:
	s_endpgm
	.section	.rodata,"a",@progbits
	.p2align	6, 0x0
	.amdhsa_kernel _Z20_residual_rms_scalarI6__halfLb0EEvPKS0_PS0_S2_PKfPT_S3_fii
		.amdhsa_group_segment_fixed_size 68
		.amdhsa_private_segment_fixed_size 0
		.amdhsa_kernarg_size 320
		.amdhsa_user_sgpr_count 6
		.amdhsa_user_sgpr_private_segment_buffer 1
		.amdhsa_user_sgpr_dispatch_ptr 0
		.amdhsa_user_sgpr_queue_ptr 0
		.amdhsa_user_sgpr_kernarg_segment_ptr 1
		.amdhsa_user_sgpr_dispatch_id 0
		.amdhsa_user_sgpr_flat_scratch_init 0
		.amdhsa_user_sgpr_kernarg_preload_length 0
		.amdhsa_user_sgpr_kernarg_preload_offset 0
		.amdhsa_user_sgpr_private_segment_size 0
		.amdhsa_uses_dynamic_stack 0
		.amdhsa_system_sgpr_private_segment_wavefront_offset 0
		.amdhsa_system_sgpr_workgroup_id_x 1
		.amdhsa_system_sgpr_workgroup_id_y 0
		.amdhsa_system_sgpr_workgroup_id_z 0
		.amdhsa_system_sgpr_workgroup_info 0
		.amdhsa_system_vgpr_workitem_id 0
		.amdhsa_next_free_vgpr 12
		.amdhsa_next_free_sgpr 22
		.amdhsa_accum_offset 12
		.amdhsa_reserve_vcc 1
		.amdhsa_reserve_flat_scratch 0
		.amdhsa_float_round_mode_32 0
		.amdhsa_float_round_mode_16_64 0
		.amdhsa_float_denorm_mode_32 3
		.amdhsa_float_denorm_mode_16_64 3
		.amdhsa_dx10_clamp 1
		.amdhsa_ieee_mode 1
		.amdhsa_fp16_overflow 0
		.amdhsa_tg_split 0
		.amdhsa_exception_fp_ieee_invalid_op 0
		.amdhsa_exception_fp_denorm_src 0
		.amdhsa_exception_fp_ieee_div_zero 0
		.amdhsa_exception_fp_ieee_overflow 0
		.amdhsa_exception_fp_ieee_underflow 0
		.amdhsa_exception_fp_ieee_inexact 0
		.amdhsa_exception_int_div_zero 0
	.end_amdhsa_kernel
	.section	.text._Z20_residual_rms_scalarI6__halfLb0EEvPKS0_PS0_S2_PKfPT_S3_fii,"axG",@progbits,_Z20_residual_rms_scalarI6__halfLb0EEvPKS0_PS0_S2_PKfPT_S3_fii,comdat
.Lfunc_end1:
	.size	_Z20_residual_rms_scalarI6__halfLb0EEvPKS0_PS0_S2_PKfPT_S3_fii, .Lfunc_end1-_Z20_residual_rms_scalarI6__halfLb0EEvPKS0_PS0_S2_PKfPT_S3_fii
                                        ; -- End function
	.section	.AMDGPU.csdata,"",@progbits
; Kernel info:
; codeLenInByte = 1244
; NumSgprs: 26
; NumVgprs: 12
; NumAgprs: 0
; TotalNumVgprs: 12
; ScratchSize: 0
; MemoryBound: 0
; FloatMode: 240
; IeeeMode: 1
; LDSByteSize: 68 bytes/workgroup (compile time only)
; SGPRBlocks: 3
; VGPRBlocks: 1
; NumSGPRsForWavesPerEU: 26
; NumVGPRsForWavesPerEU: 12
; AccumOffset: 12
; Occupancy: 8
; WaveLimiterHint : 0
; COMPUTE_PGM_RSRC2:SCRATCH_EN: 0
; COMPUTE_PGM_RSRC2:USER_SGPR: 6
; COMPUTE_PGM_RSRC2:TRAP_HANDLER: 0
; COMPUTE_PGM_RSRC2:TGID_X_EN: 1
; COMPUTE_PGM_RSRC2:TGID_Y_EN: 0
; COMPUTE_PGM_RSRC2:TGID_Z_EN: 0
; COMPUTE_PGM_RSRC2:TIDIG_COMP_CNT: 0
; COMPUTE_PGM_RSRC3_GFX90A:ACCUM_OFFSET: 2
; COMPUTE_PGM_RSRC3_GFX90A:TG_SPLIT: 0
	.section	.text._Z24_residual_rms_vectorizedItLb1EEvPK6__halfPS0_S2_PKfPT_S3_fii,"axG",@progbits,_Z24_residual_rms_vectorizedItLb1EEvPK6__halfPS0_S2_PKfPT_S3_fii,comdat
	.protected	_Z24_residual_rms_vectorizedItLb1EEvPK6__halfPS0_S2_PKfPT_S3_fii ; -- Begin function _Z24_residual_rms_vectorizedItLb1EEvPK6__halfPS0_S2_PKfPT_S3_fii
	.globl	_Z24_residual_rms_vectorizedItLb1EEvPK6__halfPS0_S2_PKfPT_S3_fii
	.p2align	8
	.type	_Z24_residual_rms_vectorizedItLb1EEvPK6__halfPS0_S2_PKfPT_S3_fii,@function
_Z24_residual_rms_vectorizedItLb1EEvPK6__halfPS0_S2_PKfPT_S3_fii: ; @_Z24_residual_rms_vectorizedItLb1EEvPK6__halfPS0_S2_PKfPT_S3_fii
; %bb.0:
	s_load_dword s0, s[4:5], 0x4c
	s_load_dwordx2 s[20:21], s[4:5], 0x28
	s_load_dwordx4 s[16:19], s[4:5], 0x30
	s_load_dwordx8 s[8:15], s[4:5], 0x8
	v_lshlrev_b32_e32 v8, 3, v0
	s_waitcnt lgkmcnt(0)
	s_and_b32 s28, s0, 0xffff
	s_lshl_b32 s7, s28, 3
	v_cvt_f32_u32_e32 v1, s7
	s_mul_i32 s0, s6, s17
	v_add_u32_e32 v2, s0, v8
	s_add_i32 s0, s7, s17
	v_rcp_iflag_f32_e32 v1, v1
	v_xad_u32 v4, v8, -1, s0
	s_sub_i32 s0, 0, s7
	v_mov_b32_e32 v3, 0
	v_mul_f32_e32 v1, 0x4f7ffffe, v1
	v_cvt_u32_f32_e32 v1, v1
	v_lshlrev_b32_e32 v9, 4, v0
	s_mov_b32 s19, 0
	v_mul_lo_u32 v5, s0, v1
	v_mul_hi_u32 v5, v1, v5
	v_add_u32_e32 v1, v1, v5
	v_mul_hi_u32 v1, v4, v1
	v_mul_lo_u32 v5, v1, s7
	v_sub_u32_e32 v4, v4, v5
	v_add_u32_e32 v5, 1, v1
	v_cmp_le_u32_e32 vcc, s7, v4
	v_cndmask_b32_e32 v1, v1, v5, vcc
	v_subrev_u32_e32 v5, s7, v4
	v_cndmask_b32_e32 v4, v4, v5, vcc
	v_add_u32_e32 v5, 1, v1
	v_cmp_le_u32_e32 vcc, s7, v4
	v_cndmask_b32_e32 v20, v1, v5, vcc
	v_cmp_lt_i32_e64 s[0:1], 0, v20
	v_lshlrev_b64 v[4:5], 1, v[2:3]
	s_and_saveexec_b64 s[22:23], s[0:1]
	s_cbranch_execz .LBB2_4
; %bb.1:
	s_load_dwordx2 s[4:5], s[4:5], 0x0
	s_lshl_b32 s29, s28, 4
	s_mov_b64 s[24:25], 0
	v_mov_b32_e32 v3, 0
	s_mov_b64 s[26:27], s[8:9]
	v_mov_b32_e32 v1, v9
.LBB2_2:                                ; =>This Inner Loop Header: Depth=1
	s_waitcnt lgkmcnt(0)
	v_mov_b32_e32 v7, s5
	v_add_co_u32_e64 v18, s[2:3], s4, v4
	v_mov_b32_e32 v10, s27
	v_add_co_u32_e32 v6, vcc, s26, v4
	v_addc_co_u32_e64 v19, s[2:3], v7, v5, s[2:3]
	v_addc_co_u32_e32 v7, vcc, v10, v5, vcc
	global_load_dwordx4 v[10:13], v[18:19], off
	global_load_dwordx4 v[14:17], v[6:7], off
	s_add_i32 s19, s19, 1
	s_add_u32 s4, s4, s29
	s_addc_u32 s5, s5, 0
	s_add_u32 s26, s26, s29
	v_cmp_ge_i32_e32 vcc, s19, v20
	s_addc_u32 s27, s27, 0
	s_or_b64 s[24:25], vcc, s[24:25]
	s_waitcnt vmcnt(0)
	v_pk_add_f16 v10, v10, v14
	v_cvt_f32_f16_e32 v6, v10
	v_cvt_f32_f16_sdwa v7, v10 dst_sel:DWORD dst_unused:UNUSED_PAD src0_sel:WORD_1
	v_pk_add_f16 v11, v11, v15
	v_cvt_f32_f16_e32 v14, v11
	v_cvt_f32_f16_sdwa v15, v11 dst_sel:DWORD dst_unused:UNUSED_PAD src0_sel:WORD_1
	v_pk_add_f16 v12, v12, v16
	v_pk_add_f16 v13, v13, v17
	v_cvt_f32_f16_e32 v16, v12
	v_cvt_f32_f16_sdwa v17, v12 dst_sel:DWORD dst_unused:UNUSED_PAD src0_sel:WORD_1
	v_pk_mul_f32 v[6:7], v[6:7], v[6:7]
	v_add_f32_e32 v3, v3, v6
	v_cvt_f32_f16_e32 v18, v13
	v_cvt_f32_f16_sdwa v19, v13 dst_sel:DWORD dst_unused:UNUSED_PAD src0_sel:WORD_1
	ds_write_b128 v1, v[10:13]
	v_pk_mul_f32 v[10:11], v[14:15], v[14:15]
	v_add_f32_e32 v3, v3, v7
	v_add_f32_e32 v3, v3, v10
	v_pk_mul_f32 v[12:13], v[16:17], v[16:17]
	v_add_f32_e32 v3, v3, v11
	v_add_f32_e32 v3, v3, v12
	v_pk_mul_f32 v[14:15], v[18:19], v[18:19]
	v_add_f32_e32 v3, v3, v13
	v_add_f32_e32 v3, v3, v14
	v_add_u32_e32 v1, s29, v1
	v_add_f32_e32 v3, v3, v15
	s_andn2_b64 exec, exec, s[24:25]
	s_cbranch_execnz .LBB2_2
; %bb.3:
	s_or_b64 exec, exec, s[24:25]
.LBB2_4:
	s_or_b64 exec, exec, s[22:23]
	v_cvt_f32_i32_e32 v6, s17
	v_mbcnt_lo_u32_b32 v1, -1, 0
	v_mbcnt_hi_u32_b32 v1, -1, v1
	v_div_scale_f32 v7, s[2:3], v6, v6, v3
	v_rcp_f32_e32 v10, v7
	v_div_scale_f32 v11, vcc, v3, v6, v3
	v_fma_f32 v12, -v7, v10, 1.0
	v_fmac_f32_e32 v10, v12, v10
	v_mul_f32_e32 v12, v11, v10
	v_fma_f32 v13, -v7, v12, v11
	v_fmac_f32_e32 v12, v13, v10
	v_fma_f32 v7, -v7, v12, v11
	v_div_fmas_f32 v7, v7, v10, v12
	v_div_fixup_f32 v3, v7, v6, v3
	v_and_b32_e32 v6, 63, v1
	v_cmp_ne_u32_e32 vcc, 63, v6
	v_addc_co_u32_e32 v7, vcc, 0, v1, vcc
	v_lshlrev_b32_e32 v7, 2, v7
	ds_bpermute_b32 v7, v7, v3
	v_and_b32_e32 v10, 0x3c0, v0
	v_sub_u32_e64 v10, s28, v10 clamp
	v_add_u32_e32 v11, 1, v1
	v_cmp_lt_u32_e32 vcc, v11, v10
	s_waitcnt lgkmcnt(0)
	v_add_f32_e32 v7, v3, v7
	v_cndmask_b32_e32 v3, v3, v7, vcc
	v_cmp_gt_u32_e32 vcc, 62, v6
	v_cndmask_b32_e64 v7, 0, 1, vcc
	v_lshlrev_b32_e32 v7, 1, v7
	v_add_lshl_u32 v7, v7, v1, 2
	ds_bpermute_b32 v7, v7, v3
	v_add_u32_e32 v11, 2, v1
	v_cmp_lt_u32_e32 vcc, v11, v10
	v_add_u32_e32 v11, 4, v1
	s_waitcnt lgkmcnt(0)
	v_add_f32_e32 v7, v3, v7
	v_cndmask_b32_e32 v3, v3, v7, vcc
	v_cmp_gt_u32_e32 vcc, 60, v6
	v_cndmask_b32_e64 v7, 0, 1, vcc
	v_lshlrev_b32_e32 v7, 2, v7
	v_add_lshl_u32 v7, v7, v1, 2
	ds_bpermute_b32 v7, v7, v3
	v_cmp_lt_u32_e32 vcc, v11, v10
	v_add_u32_e32 v11, 8, v1
	s_waitcnt lgkmcnt(0)
	v_add_f32_e32 v7, v3, v7
	v_cndmask_b32_e32 v3, v3, v7, vcc
	v_cmp_gt_u32_e32 vcc, 56, v6
	v_cndmask_b32_e64 v7, 0, 1, vcc
	v_lshlrev_b32_e32 v7, 3, v7
	v_add_lshl_u32 v7, v7, v1, 2
	ds_bpermute_b32 v7, v7, v3
	;; [unrolled: 10-line block ×3, first 2 shown]
	v_cmp_lt_u32_e32 vcc, v11, v10
	s_waitcnt lgkmcnt(0)
	v_add_f32_e32 v7, v3, v7
	v_cndmask_b32_e32 v3, v3, v7, vcc
	v_cmp_gt_u32_e32 vcc, 32, v6
	v_cndmask_b32_e64 v6, 0, 1, vcc
	v_lshlrev_b32_e32 v6, 5, v6
	v_add_lshl_u32 v6, v6, v1, 2
	ds_bpermute_b32 v6, v6, v3
	v_add_u32_e32 v7, 32, v1
	v_cmp_lt_u32_e32 vcc, v7, v10
	s_waitcnt lgkmcnt(0)
	v_add_f32_e32 v6, v3, v6
	v_cndmask_b32_e32 v3, v3, v6, vcc
	v_cmp_eq_u32_e32 vcc, 0, v1
	s_and_saveexec_b64 s[2:3], vcc
	s_cbranch_execz .LBB2_6
; %bb.5:
	v_lshrrev_b32_e32 v6, 4, v0
	v_and_b32_e32 v6, 60, v6
	ds_write_b32 v6, v3 offset:32768
.LBB2_6:
	s_or_b64 exec, exec, s[2:3]
	v_cmp_gt_u32_e32 vcc, 16, v0
	s_waitcnt lgkmcnt(0)
	s_barrier
	s_and_saveexec_b64 s[4:5], vcc
	s_cbranch_execz .LBB2_8
; %bb.7:
	v_lshlrev_b32_e32 v3, 2, v1
	ds_read_b32 v3, v3 offset:32768
	v_and_b32_e32 v6, 15, v1
	v_cmp_ne_u32_e32 vcc, 15, v6
	v_addc_co_u32_e32 v7, vcc, 0, v1, vcc
	v_lshlrev_b32_e32 v7, 2, v7
	s_waitcnt lgkmcnt(0)
	ds_bpermute_b32 v7, v7, v3
	s_add_i32 s2, s28, 63
	s_lshr_b32 s17, s2, 6
	v_add_u32_e32 v10, 1, v6
	v_cmp_gt_u32_e64 s[2:3], 14, v6
	v_cmp_gt_u32_e32 vcc, s17, v10
	v_cndmask_b32_e64 v10, 0, 1, s[2:3]
	s_waitcnt lgkmcnt(0)
	v_add_f32_e32 v7, v3, v7
	v_lshlrev_b32_e32 v10, 1, v10
	v_cndmask_b32_e32 v7, v3, v7, vcc
	v_add_lshl_u32 v10, v10, v1, 2
	ds_bpermute_b32 v10, v10, v7
	v_add_u32_e32 v11, 2, v6
	v_cmp_gt_u32_e64 s[2:3], s17, v11
	v_add_u32_e32 v11, 4, v6
	s_waitcnt lgkmcnt(0)
	v_add_f32_e32 v10, v7, v10
	v_cndmask_b32_e64 v7, v7, v10, s[2:3]
	v_cmp_gt_u32_e64 s[2:3], 12, v6
	v_cndmask_b32_e64 v10, 0, 1, s[2:3]
	v_lshlrev_b32_e32 v10, 2, v10
	v_add_lshl_u32 v10, v10, v1, 2
	ds_bpermute_b32 v10, v10, v7
	v_cmp_gt_u32_e64 s[2:3], s17, v11
	s_waitcnt lgkmcnt(0)
	v_add_f32_e32 v10, v7, v10
	v_cndmask_b32_e64 v7, v7, v10, s[2:3]
	v_cmp_gt_u32_e64 s[2:3], 8, v6
	v_cndmask_b32_e64 v10, 0, 1, s[2:3]
	v_lshlrev_b32_e32 v10, 3, v10
	v_add_lshl_u32 v1, v10, v1, 2
	ds_bpermute_b32 v1, v1, v7
	v_add_u32_e32 v6, 8, v6
	v_cmp_gt_u32_e64 s[2:3], s17, v6
	s_waitcnt lgkmcnt(0)
	v_add_f32_e32 v1, v7, v1
	v_cndmask_b32_e64 v1, v7, v1, s[2:3]
	v_cndmask_b32_e32 v3, v3, v1, vcc
.LBB2_8:
	s_or_b64 exec, exec, s[4:5]
	v_cmp_eq_u32_e32 vcc, 0, v0
	s_and_saveexec_b64 s[2:3], vcc
	s_cbranch_execz .LBB2_10
; %bb.9:
	v_add_f32_e32 v0, s16, v3
	s_mov_b32 s4, 0x800000
	v_mul_f32_e32 v1, 0x4b800000, v0
	v_cmp_gt_f32_e32 vcc, s4, v0
	v_cndmask_b32_e32 v0, v0, v1, vcc
	v_rsq_f32_e32 v0, v0
	v_mul_f32_e32 v1, 0x45800000, v0
	v_cndmask_b32_e32 v0, v0, v1, vcc
	v_mov_b32_e32 v1, 0
	ds_write_b32 v1, v0 offset:32832
.LBB2_10:
	s_or_b64 exec, exec, s[2:3]
	v_mov_b32_e32 v11, 0
	s_waitcnt lgkmcnt(0)
	s_barrier
	ds_read_b32 v0, v11 offset:32832
	s_load_dword s4, s[12:13], 0x0
	s_waitcnt lgkmcnt(0)
	v_div_scale_f32 v1, s[2:3], s4, s4, v0
	v_rcp_f32_e32 v3, v1
	v_div_scale_f32 v6, vcc, v0, s4, v0
	v_fma_f32 v7, -v1, v3, 1.0
	v_fmac_f32_e32 v3, v7, v3
	v_mul_f32_e32 v7, v6, v3
	v_fma_f32 v10, -v1, v7, v6
	v_fmac_f32_e32 v7, v10, v3
	v_fma_f32 v1, -v1, v7, v6
	v_div_fmas_f32 v1, v1, v3, v7
	v_div_fixup_f32 v12, v1, s4, v0
	ds_write_b32 v11, v12 offset:32832
	s_and_saveexec_b64 s[2:3], s[0:1]
	s_cbranch_execz .LBB2_93
; %bb.11:
	v_mov_b32_e32 v0, s9
	v_add_co_u32_e32 v21, vcc, s8, v4
	v_addc_co_u32_e32 v22, vcc, v0, v5, vcc
	v_lshlrev_b32_e32 v0, 1, v8
	v_mov_b32_e32 v1, s11
	v_add_co_u32_e32 v23, vcc, s10, v0
	v_addc_co_u32_e32 v24, vcc, 0, v1, vcc
	v_and_b32_e32 v0, -2, v2
	v_mov_b32_e32 v1, s15
	v_add_co_u32_e32 v0, vcc, s14, v0
	v_addc_co_u32_e32 v1, vcc, 0, v1, vcc
	s_mov_b32 s19, 0
	v_add_co_u32_e32 v14, vcc, 4, v0
	v_mov_b32_e32 v13, v12
	s_lshl_b32 s26, s28, 4
	v_addc_co_u32_e32 v15, vcc, 0, v1, vcc
	s_mov_b64 s[4:5], 0
	s_movk_i32 s27, 0x7f
	s_mov_b64 s[8:9], 0x7f800000
	s_mov_b64 s[10:11], 0x43700001
	s_movk_i32 s28, 0x79
	s_mov_b64 s[12:13], 0xffffff
	s_movk_i32 s29, 0x80
	s_mov_b32 s30, 0x5040100
	v_mov_b32_e32 v25, 0xffffff82
	v_mov_b32_e32 v26, 0x77
	s_mov_b64 s[14:15], 0
	s_mov_b32 s31, s19
	s_branch .LBB2_16
.LBB2_12:                               ;   in Loop: Header=BB2_16 Depth=1
	s_or_b64 exec, exec, s[0:1]
	v_lshrrev_b64 v[2:3], 20, v[2:3]
	v_cmp_gt_i32_e32 vcc, 16, v1
	v_and_b32_sdwa v0, v0, s29 dst_sel:DWORD dst_unused:UNUSED_PAD src0_sel:BYTE_3 src1_sel:DWORD
	v_min_i32_e32 v7, 15, v1
	v_cndmask_b32_e32 v3, 0, v3, vcc
	v_cndmask_b32_e32 v2, 7, v2, vcc
	v_cmp_eq_u32_e32 vcc, 0, v1
	v_cmp_eq_u64_e64 s[0:1], 0, v[2:3]
	v_lshl_or_b32 v0, v7, 3, v0
	v_and_or_b32 v0, v2, 7, v0
	s_and_b64 s[0:1], vcc, s[0:1]
	v_cndmask_b32_e64 v1, v0, 0, s[0:1]
.LBB2_13:                               ;   in Loop: Header=BB2_16 Depth=1
	s_or_b64 exec, exec, s[24:25]
.LBB2_14:                               ;   in Loop: Header=BB2_16 Depth=1
	s_andn2_saveexec_b64 s[0:1], s[22:23]
	s_or_b64 exec, exec, s[0:1]
.LBB2_15:                               ;   in Loop: Header=BB2_16 Depth=1
	s_andn2_saveexec_b64 s[0:1], s[16:17]
	s_or_b64 exec, exec, s[0:1]
	v_lshlrev_b16_e32 v0, 8, v6
	v_or_b32_sdwa v0, v0, v4 dst_sel:DWORD dst_unused:UNUSED_PAD src0_sel:DWORD src1_sel:BYTE_0
	v_lshlrev_b16_e32 v2, 8, v16
	v_lshlrev_b16_e32 v3, 8, v27
	;; [unrolled: 1-line block ×3, first 2 shown]
	s_add_i32 s31, s31, 1
	v_or_b32_sdwa v2, v2, v18 dst_sel:DWORD dst_unused:UNUSED_PAD src0_sel:DWORD src1_sel:BYTE_0
	v_or_b32_sdwa v3, v3, v17 dst_sel:DWORD dst_unused:UNUSED_PAD src0_sel:DWORD src1_sel:BYTE_0
	;; [unrolled: 1-line block ×3, first 2 shown]
	s_add_u32 s14, s14, s26
	v_perm_b32 v1, v1, v0, s30
	v_perm_b32 v0, v2, v3, s30
	s_addc_u32 s15, s15, 0
	v_cmp_ge_i32_e32 vcc, s31, v20
	global_store_dwordx2 v[14:15], v[0:1], off offset:-4
	v_mov_b32_e32 v0, s19
	s_or_b64 s[4:5], vcc, s[4:5]
	v_add_co_u32_e32 v14, vcc, s7, v14
	v_add_u32_e32 v9, s26, v9
	v_addc_co_u32_e32 v15, vcc, v15, v0, vcc
	s_andn2_b64 exec, exec, s[4:5]
	s_cbranch_execz .LBB2_93
.LBB2_16:                               ; =>This Inner Loop Header: Depth=1
	v_mov_b32_e32 v10, s15
	v_add_co_u32_e32 v0, vcc, s14, v23
	v_addc_co_u32_e32 v1, vcc, v24, v10, vcc
	global_load_dwordx4 v[0:3], v[0:1], off
	ds_read_b128 v[4:7], v9
	v_add_co_u32_e32 v28, vcc, s14, v21
	v_addc_co_u32_e32 v29, vcc, v22, v10, vcc
	s_waitcnt lgkmcnt(0)
	v_cvt_f32_f16_sdwa v17, v4 dst_sel:DWORD dst_unused:UNUSED_PAD src0_sel:WORD_1
	v_cvt_f32_f16_e32 v16, v4
	global_store_dwordx4 v[28:29], v[4:7], off
	s_waitcnt vmcnt(1)
	v_cvt_f32_f16_e32 v18, v0
	v_cvt_f32_f16_sdwa v19, v0 dst_sel:DWORD dst_unused:UNUSED_PAD src0_sel:WORD_1
	v_pk_mul_f32 v[16:17], v[16:17], v[18:19]
	v_pk_mul_f32 v[16:17], v[12:13], v[16:17]
	v_and_b32_e32 v10, 0x7f800000, v17
	v_or_b32_sdwa v27, v17, s27 dst_sel:DWORD dst_unused:UNUSED_PAD src0_sel:BYTE_3 src1_sel:DWORD
	v_cmp_ne_u64_e32 vcc, s[8:9], v[10:11]
	s_and_saveexec_b64 s[0:1], vcc
	s_xor_b64 s[16:17], exec, s[0:1]
	s_cbranch_execz .LBB2_26
; %bb.17:                               ;   in Loop: Header=BB2_16 Depth=1
	v_mov_b32_e32 v0, v17
	v_and_b32_e32 v10, 0x7fffffff, v0
	v_cmp_gt_u64_e32 vcc, s[10:11], v[10:11]
	s_and_saveexec_b64 s[0:1], vcc
	s_xor_b64 s[22:23], exec, s[0:1]
	s_cbranch_execz .LBB2_25
; %bb.18:                               ;   in Loop: Header=BB2_16 Depth=1
	v_cmp_ne_u32_e32 vcc, 0, v0
	v_mov_b32_e32 v27, 0
	s_and_saveexec_b64 s[24:25], vcc
	s_cbranch_execz .LBB2_24
; %bb.19:                               ;   in Loop: Header=BB2_16 Depth=1
	v_bfe_u32 v4, v17, 23, 8
	v_sub_u32_e32 v18, 0x78, v4
	v_cmp_gt_u32_e32 vcc, s28, v4
	v_and_b32_e32 v0, 0x7fffff, v0
	v_cndmask_b32_e32 v18, 0, v18, vcc
	v_cmp_eq_u32_e32 vcc, 0, v4
	v_add_u32_e32 v10, 0xffffff81, v4
	v_or_b32_e32 v19, 0x800000, v0
	v_cndmask_b32_e32 v27, v18, v26, vcc
	v_cndmask_b32_e32 v4, v10, v25, vcc
	;; [unrolled: 1-line block ×3, first 2 shown]
	v_add_u32_e32 v0, 20, v27
	v_lshlrev_b64 v[18:19], v0, -1
	v_not_b32_e32 v0, v18
	v_and_b32_e32 v18, v10, v0
	v_add_u32_e32 v0, 19, v27
	v_lshrrev_b64 v[30:31], v27, v[10:11]
	v_lshlrev_b64 v[28:29], v0, 1
	v_lshrrev_b32_e32 v0, 23, v30
	v_mov_b32_e32 v19, v11
	v_add3_u32 v10, v27, v4, v0
	v_bfe_u32 v0, v30, 20, 1
	v_add_u32_e32 v0, -1, v0
	v_cmp_eq_u64_e32 vcc, v[18:19], v[28:29]
	v_cndmask_b32_e32 v0, 0, v0, vcc
	v_add_u32_e32 v0, v0, v30
	v_and_b32_e32 v0, 0xfffff, v0
	v_add_co_u32_e32 v18, vcc, v0, v30
	v_add_u32_e32 v4, 7, v10
	v_addc_co_u32_e32 v19, vcc, 0, v31, vcc
	v_cmp_ne_u32_e32 vcc, 0, v4
                                        ; implicit-def: $vgpr0
	s_and_saveexec_b64 s[0:1], vcc
	s_xor_b64 s[0:1], exec, s[0:1]
; %bb.20:                               ;   in Loop: Header=BB2_16 Depth=1
	v_add_u32_e32 v0, 8, v10
	v_cmp_lt_u64_e32 vcc, s[12:13], v[18:19]
	v_cndmask_b32_e32 v0, v4, v0, vcc
	v_cndmask_b32_e64 v4, 0, 1, vcc
	v_lshrrev_b64 v[18:19], v4, v[18:19]
; %bb.21:                               ;   in Loop: Header=BB2_16 Depth=1
	s_andn2_saveexec_b64 s[0:1], s[0:1]
; %bb.22:                               ;   in Loop: Header=BB2_16 Depth=1
	v_bfe_u32 v0, v18, 23, 1
; %bb.23:                               ;   in Loop: Header=BB2_16 Depth=1
	s_or_b64 exec, exec, s[0:1]
	v_lshrrev_b64 v[18:19], 20, v[18:19]
	v_cmp_gt_i32_e32 vcc, 16, v0
	v_and_b32_sdwa v4, v17, s29 dst_sel:DWORD dst_unused:UNUSED_PAD src0_sel:BYTE_3 src1_sel:DWORD
	v_min_i32_e32 v10, 15, v0
	v_cndmask_b32_e32 v19, 0, v19, vcc
	v_cndmask_b32_e32 v18, 7, v18, vcc
	v_cmp_eq_u32_e32 vcc, 0, v0
	v_cmp_eq_u64_e64 s[0:1], 0, v[18:19]
	v_lshl_or_b32 v0, v10, 3, v4
	v_and_or_b32 v0, v18, 7, v0
	s_and_b64 s[0:1], vcc, s[0:1]
	v_cndmask_b32_e64 v27, v0, 0, s[0:1]
.LBB2_24:                               ;   in Loop: Header=BB2_16 Depth=1
	s_or_b64 exec, exec, s[24:25]
.LBB2_25:                               ;   in Loop: Header=BB2_16 Depth=1
	s_andn2_saveexec_b64 s[0:1], s[22:23]
	s_or_b64 exec, exec, s[0:1]
.LBB2_26:                               ;   in Loop: Header=BB2_16 Depth=1
	s_andn2_saveexec_b64 s[0:1], s[16:17]
	s_or_b64 exec, exec, s[0:1]
	v_and_b32_e32 v10, 0x7f800000, v16
	v_or_b32_sdwa v17, v16, s27 dst_sel:DWORD dst_unused:UNUSED_PAD src0_sel:BYTE_3 src1_sel:DWORD
	v_cmp_ne_u64_e32 vcc, s[8:9], v[10:11]
	s_and_saveexec_b64 s[0:1], vcc
	s_xor_b64 s[16:17], exec, s[0:1]
	s_cbranch_execz .LBB2_36
; %bb.27:                               ;   in Loop: Header=BB2_16 Depth=1
	v_and_b32_e32 v10, 0x7fffffff, v16
	v_cmp_gt_u64_e32 vcc, s[10:11], v[10:11]
	s_and_saveexec_b64 s[0:1], vcc
	s_xor_b64 s[22:23], exec, s[0:1]
	s_cbranch_execz .LBB2_35
; %bb.28:                               ;   in Loop: Header=BB2_16 Depth=1
	v_cmp_ne_u32_e32 vcc, 0, v16
	v_mov_b32_e32 v17, 0
	s_and_saveexec_b64 s[24:25], vcc
	s_cbranch_execz .LBB2_34
; %bb.29:                               ;   in Loop: Header=BB2_16 Depth=1
	v_bfe_u32 v4, v16, 23, 8
	v_sub_u32_e32 v17, 0x78, v4
	v_cmp_gt_u32_e32 vcc, s28, v4
	v_and_b32_e32 v0, 0x7fffff, v16
	v_cndmask_b32_e32 v17, 0, v17, vcc
	v_cmp_eq_u32_e32 vcc, 0, v4
	v_add_u32_e32 v10, 0xffffff81, v4
	v_or_b32_e32 v18, 0x800000, v0
	v_cndmask_b32_e32 v17, v17, v26, vcc
	v_cndmask_b32_e32 v4, v10, v25, vcc
	v_cndmask_b32_e32 v10, v18, v0, vcc
	v_add_u32_e32 v0, 20, v17
	v_lshlrev_b64 v[18:19], v0, -1
	v_not_b32_e32 v0, v18
	v_and_b32_e32 v18, v10, v0
	v_add_u32_e32 v0, 19, v17
	v_lshrrev_b64 v[30:31], v17, v[10:11]
	v_lshlrev_b64 v[28:29], v0, 1
	v_lshrrev_b32_e32 v0, 23, v30
	v_mov_b32_e32 v19, v11
	v_add3_u32 v10, v17, v4, v0
	v_bfe_u32 v0, v30, 20, 1
	v_add_u32_e32 v0, -1, v0
	v_cmp_eq_u64_e32 vcc, v[18:19], v[28:29]
	v_cndmask_b32_e32 v0, 0, v0, vcc
	v_add_u32_e32 v0, v0, v30
	v_and_b32_e32 v0, 0xfffff, v0
	v_add_co_u32_e32 v18, vcc, v0, v30
	v_add_u32_e32 v4, 7, v10
	v_addc_co_u32_e32 v19, vcc, 0, v31, vcc
	v_cmp_ne_u32_e32 vcc, 0, v4
                                        ; implicit-def: $vgpr0
	s_and_saveexec_b64 s[0:1], vcc
	s_xor_b64 s[0:1], exec, s[0:1]
; %bb.30:                               ;   in Loop: Header=BB2_16 Depth=1
	v_add_u32_e32 v0, 8, v10
	v_cmp_lt_u64_e32 vcc, s[12:13], v[18:19]
	v_cndmask_b32_e32 v0, v4, v0, vcc
	v_cndmask_b32_e64 v4, 0, 1, vcc
	v_lshrrev_b64 v[18:19], v4, v[18:19]
; %bb.31:                               ;   in Loop: Header=BB2_16 Depth=1
	s_andn2_saveexec_b64 s[0:1], s[0:1]
; %bb.32:                               ;   in Loop: Header=BB2_16 Depth=1
	v_bfe_u32 v0, v18, 23, 1
; %bb.33:                               ;   in Loop: Header=BB2_16 Depth=1
	s_or_b64 exec, exec, s[0:1]
	v_and_b32_sdwa v4, v16, s29 dst_sel:DWORD dst_unused:UNUSED_PAD src0_sel:BYTE_3 src1_sel:DWORD
	v_lshrrev_b64 v[16:17], 20, v[18:19]
	v_cmp_gt_i32_e32 vcc, 16, v0
	v_min_i32_e32 v10, 15, v0
	v_cndmask_b32_e32 v17, 0, v17, vcc
	v_cndmask_b32_e32 v16, 7, v16, vcc
	v_cmp_eq_u32_e32 vcc, 0, v0
	v_cmp_eq_u64_e64 s[0:1], 0, v[16:17]
	v_lshl_or_b32 v0, v10, 3, v4
	v_and_or_b32 v0, v16, 7, v0
	s_and_b64 s[0:1], vcc, s[0:1]
	v_cndmask_b32_e64 v17, v0, 0, s[0:1]
.LBB2_34:                               ;   in Loop: Header=BB2_16 Depth=1
	s_or_b64 exec, exec, s[24:25]
.LBB2_35:                               ;   in Loop: Header=BB2_16 Depth=1
	s_andn2_saveexec_b64 s[0:1], s[22:23]
	s_or_b64 exec, exec, s[0:1]
.LBB2_36:                               ;   in Loop: Header=BB2_16 Depth=1
	s_andn2_saveexec_b64 s[0:1], s[16:17]
	s_or_b64 exec, exec, s[0:1]
	v_cvt_f32_f16_sdwa v19, v5 dst_sel:DWORD dst_unused:UNUSED_PAD src0_sel:WORD_1
	v_cvt_f32_f16_e32 v18, v5
	v_cvt_f32_f16_sdwa v5, v1 dst_sel:DWORD dst_unused:UNUSED_PAD src0_sel:WORD_1
	v_cvt_f32_f16_e32 v4, v1
	v_pk_mul_f32 v[0:1], v[18:19], v[4:5]
	v_pk_mul_f32 v[0:1], v[12:13], v[0:1]
	v_and_b32_e32 v10, 0x7f800000, v1
	v_or_b32_sdwa v16, v1, s27 dst_sel:DWORD dst_unused:UNUSED_PAD src0_sel:BYTE_3 src1_sel:DWORD
	v_cmp_ne_u64_e32 vcc, s[8:9], v[10:11]
	s_and_saveexec_b64 s[0:1], vcc
	s_xor_b64 s[16:17], exec, s[0:1]
	s_cbranch_execz .LBB2_46
; %bb.37:                               ;   in Loop: Header=BB2_16 Depth=1
	v_mov_b32_e32 v4, v1
	v_and_b32_e32 v10, 0x7fffffff, v4
	v_cmp_gt_u64_e32 vcc, s[10:11], v[10:11]
	s_and_saveexec_b64 s[0:1], vcc
	s_xor_b64 s[22:23], exec, s[0:1]
	s_cbranch_execz .LBB2_45
; %bb.38:                               ;   in Loop: Header=BB2_16 Depth=1
	v_cmp_ne_u32_e32 vcc, 0, v4
	v_mov_b32_e32 v16, 0
	s_and_saveexec_b64 s[24:25], vcc
	s_cbranch_execz .LBB2_44
; %bb.39:                               ;   in Loop: Header=BB2_16 Depth=1
	v_bfe_u32 v5, v1, 23, 8
	v_sub_u32_e32 v16, 0x78, v5
	v_cmp_gt_u32_e32 vcc, s28, v5
	v_and_b32_e32 v4, 0x7fffff, v4
	v_cndmask_b32_e32 v16, 0, v16, vcc
	v_cmp_eq_u32_e32 vcc, 0, v5
	v_add_u32_e32 v10, 0xffffff81, v5
	v_or_b32_e32 v18, 0x800000, v4
	v_cndmask_b32_e32 v16, v16, v26, vcc
	v_cndmask_b32_e32 v19, v10, v25, vcc
	;; [unrolled: 1-line block ×3, first 2 shown]
	v_add_u32_e32 v4, 20, v16
	v_lshlrev_b64 v[4:5], v4, -1
	v_not_b32_e32 v4, v4
	v_lshrrev_b64 v[30:31], v16, v[10:11]
	v_and_b32_e32 v4, v10, v4
	v_add_u32_e32 v18, 19, v16
	v_lshrrev_b32_e32 v10, 23, v30
	v_mov_b32_e32 v5, v11
	v_lshlrev_b64 v[28:29], v18, 1
	v_add3_u32 v18, v16, v19, v10
	v_bfe_u32 v10, v30, 20, 1
	v_add_u32_e32 v10, -1, v10
	v_cmp_eq_u64_e32 vcc, v[4:5], v[28:29]
	v_cndmask_b32_e32 v4, 0, v10, vcc
	v_add_u32_e32 v4, v4, v30
	v_and_b32_e32 v4, 0xfffff, v4
	v_add_co_u32_e32 v4, vcc, v4, v30
	v_add_u32_e32 v16, 7, v18
	v_addc_co_u32_e32 v5, vcc, 0, v31, vcc
	v_cmp_ne_u32_e32 vcc, 0, v16
                                        ; implicit-def: $vgpr10
	s_and_saveexec_b64 s[0:1], vcc
	s_xor_b64 s[0:1], exec, s[0:1]
; %bb.40:                               ;   in Loop: Header=BB2_16 Depth=1
	v_add_u32_e32 v10, 8, v18
	v_cmp_lt_u64_e32 vcc, s[12:13], v[4:5]
	v_cndmask_b32_e32 v10, v16, v10, vcc
	v_cndmask_b32_e64 v16, 0, 1, vcc
	v_lshrrev_b64 v[4:5], v16, v[4:5]
; %bb.41:                               ;   in Loop: Header=BB2_16 Depth=1
	s_andn2_saveexec_b64 s[0:1], s[0:1]
; %bb.42:                               ;   in Loop: Header=BB2_16 Depth=1
	v_bfe_u32 v10, v4, 23, 1
; %bb.43:                               ;   in Loop: Header=BB2_16 Depth=1
	s_or_b64 exec, exec, s[0:1]
	v_lshrrev_b64 v[4:5], 20, v[4:5]
	v_cmp_gt_i32_e32 vcc, 16, v10
	v_and_b32_sdwa v1, v1, s29 dst_sel:DWORD dst_unused:UNUSED_PAD src0_sel:BYTE_3 src1_sel:DWORD
	v_min_i32_e32 v16, 15, v10
	v_cndmask_b32_e32 v5, 0, v5, vcc
	v_cndmask_b32_e32 v4, 7, v4, vcc
	v_cmp_eq_u32_e32 vcc, 0, v10
	v_cmp_eq_u64_e64 s[0:1], 0, v[4:5]
	v_lshl_or_b32 v1, v16, 3, v1
	v_and_or_b32 v1, v4, 7, v1
	s_and_b64 s[0:1], vcc, s[0:1]
	v_cndmask_b32_e64 v16, v1, 0, s[0:1]
.LBB2_44:                               ;   in Loop: Header=BB2_16 Depth=1
	s_or_b64 exec, exec, s[24:25]
.LBB2_45:                               ;   in Loop: Header=BB2_16 Depth=1
	s_andn2_saveexec_b64 s[0:1], s[22:23]
	s_or_b64 exec, exec, s[0:1]
.LBB2_46:                               ;   in Loop: Header=BB2_16 Depth=1
	s_andn2_saveexec_b64 s[0:1], s[16:17]
	s_or_b64 exec, exec, s[0:1]
	v_and_b32_e32 v10, 0x7f800000, v0
	v_or_b32_sdwa v18, v0, s27 dst_sel:DWORD dst_unused:UNUSED_PAD src0_sel:BYTE_3 src1_sel:DWORD
	v_cmp_ne_u64_e32 vcc, s[8:9], v[10:11]
	s_and_saveexec_b64 s[0:1], vcc
	s_xor_b64 s[16:17], exec, s[0:1]
	s_cbranch_execz .LBB2_56
; %bb.47:                               ;   in Loop: Header=BB2_16 Depth=1
	v_and_b32_e32 v10, 0x7fffffff, v0
	v_cmp_gt_u64_e32 vcc, s[10:11], v[10:11]
	s_and_saveexec_b64 s[0:1], vcc
	s_xor_b64 s[22:23], exec, s[0:1]
	s_cbranch_execz .LBB2_55
; %bb.48:                               ;   in Loop: Header=BB2_16 Depth=1
	v_cmp_ne_u32_e32 vcc, 0, v0
	v_mov_b32_e32 v18, 0
	s_and_saveexec_b64 s[24:25], vcc
	s_cbranch_execz .LBB2_54
; %bb.49:                               ;   in Loop: Header=BB2_16 Depth=1
	v_bfe_u32 v4, v0, 23, 8
	v_sub_u32_e32 v10, 0x78, v4
	v_cmp_gt_u32_e32 vcc, s28, v4
	v_and_b32_e32 v1, 0x7fffff, v0
	v_cndmask_b32_e32 v10, 0, v10, vcc
	v_cmp_eq_u32_e32 vcc, 0, v4
	v_or_b32_e32 v18, 0x800000, v1
	v_cndmask_b32_e32 v32, v10, v26, vcc
	v_add_u32_e32 v5, 0xffffff81, v4
	v_cndmask_b32_e32 v10, v18, v1, vcc
	v_add_u32_e32 v1, 20, v32
	v_cndmask_b32_e32 v19, v5, v25, vcc
	v_lshlrev_b64 v[4:5], v1, -1
	v_not_b32_e32 v1, v4
	v_and_b32_e32 v4, v10, v1
	v_add_u32_e32 v1, 19, v32
	v_lshrrev_b64 v[30:31], v32, v[10:11]
	v_lshlrev_b64 v[28:29], v1, 1
	v_lshrrev_b32_e32 v1, 23, v30
	v_mov_b32_e32 v5, v11
	v_add3_u32 v18, v32, v19, v1
	v_bfe_u32 v1, v30, 20, 1
	v_add_u32_e32 v1, -1, v1
	v_cmp_eq_u64_e32 vcc, v[4:5], v[28:29]
	v_cndmask_b32_e32 v1, 0, v1, vcc
	v_add_u32_e32 v1, v1, v30
	v_and_b32_e32 v1, 0xfffff, v1
	v_add_co_u32_e32 v4, vcc, v1, v30
	v_add_u32_e32 v10, 7, v18
	v_addc_co_u32_e32 v5, vcc, 0, v31, vcc
	v_cmp_ne_u32_e32 vcc, 0, v10
                                        ; implicit-def: $vgpr1
	s_and_saveexec_b64 s[0:1], vcc
	s_xor_b64 s[0:1], exec, s[0:1]
; %bb.50:                               ;   in Loop: Header=BB2_16 Depth=1
	v_add_u32_e32 v1, 8, v18
	v_cmp_lt_u64_e32 vcc, s[12:13], v[4:5]
	v_cndmask_b32_e32 v1, v10, v1, vcc
	v_cndmask_b32_e64 v10, 0, 1, vcc
	v_lshrrev_b64 v[4:5], v10, v[4:5]
; %bb.51:                               ;   in Loop: Header=BB2_16 Depth=1
	s_andn2_saveexec_b64 s[0:1], s[0:1]
; %bb.52:                               ;   in Loop: Header=BB2_16 Depth=1
	v_bfe_u32 v1, v4, 23, 1
; %bb.53:                               ;   in Loop: Header=BB2_16 Depth=1
	s_or_b64 exec, exec, s[0:1]
	v_lshrrev_b64 v[4:5], 20, v[4:5]
	v_cmp_gt_i32_e32 vcc, 16, v1
	v_and_b32_sdwa v0, v0, s29 dst_sel:DWORD dst_unused:UNUSED_PAD src0_sel:BYTE_3 src1_sel:DWORD
	v_min_i32_e32 v10, 15, v1
	v_cndmask_b32_e32 v5, 0, v5, vcc
	v_cndmask_b32_e32 v4, 7, v4, vcc
	v_cmp_eq_u32_e32 vcc, 0, v1
	v_cmp_eq_u64_e64 s[0:1], 0, v[4:5]
	v_lshl_or_b32 v0, v10, 3, v0
	v_and_or_b32 v0, v4, 7, v0
	s_and_b64 s[0:1], vcc, s[0:1]
	v_cndmask_b32_e64 v18, v0, 0, s[0:1]
.LBB2_54:                               ;   in Loop: Header=BB2_16 Depth=1
	s_or_b64 exec, exec, s[24:25]
.LBB2_55:                               ;   in Loop: Header=BB2_16 Depth=1
	s_andn2_saveexec_b64 s[0:1], s[22:23]
	s_or_b64 exec, exec, s[0:1]
.LBB2_56:                               ;   in Loop: Header=BB2_16 Depth=1
	s_andn2_saveexec_b64 s[0:1], s[16:17]
	s_or_b64 exec, exec, s[0:1]
	v_cvt_f32_f16_sdwa v1, v6 dst_sel:DWORD dst_unused:UNUSED_PAD src0_sel:WORD_1
	v_cvt_f32_f16_e32 v0, v6
	v_cvt_f32_f16_sdwa v5, v2 dst_sel:DWORD dst_unused:UNUSED_PAD src0_sel:WORD_1
	v_cvt_f32_f16_e32 v4, v2
	v_pk_mul_f32 v[0:1], v[0:1], v[4:5]
	v_pk_mul_f32 v[0:1], v[12:13], v[0:1]
	v_and_b32_e32 v10, 0x7f800000, v1
	v_or_b32_sdwa v6, v1, s27 dst_sel:DWORD dst_unused:UNUSED_PAD src0_sel:BYTE_3 src1_sel:DWORD
	v_cmp_ne_u64_e32 vcc, s[8:9], v[10:11]
	s_and_saveexec_b64 s[0:1], vcc
	s_xor_b64 s[16:17], exec, s[0:1]
	s_cbranch_execz .LBB2_66
; %bb.57:                               ;   in Loop: Header=BB2_16 Depth=1
	v_mov_b32_e32 v2, v1
	v_and_b32_e32 v10, 0x7fffffff, v2
	v_cmp_gt_u64_e32 vcc, s[10:11], v[10:11]
	s_and_saveexec_b64 s[0:1], vcc
	s_xor_b64 s[22:23], exec, s[0:1]
	s_cbranch_execz .LBB2_65
; %bb.58:                               ;   in Loop: Header=BB2_16 Depth=1
	v_cmp_ne_u32_e32 vcc, 0, v2
	v_mov_b32_e32 v6, 0
	s_and_saveexec_b64 s[24:25], vcc
	s_cbranch_execz .LBB2_64
; %bb.59:                               ;   in Loop: Header=BB2_16 Depth=1
	v_bfe_u32 v4, v1, 23, 8
	v_sub_u32_e32 v6, 0x78, v4
	v_cmp_gt_u32_e32 vcc, s28, v4
	v_and_b32_e32 v2, 0x7fffff, v2
	v_cndmask_b32_e32 v6, 0, v6, vcc
	v_cmp_eq_u32_e32 vcc, 0, v4
	v_or_b32_e32 v10, 0x800000, v2
	v_cndmask_b32_e32 v6, v6, v26, vcc
	v_add_u32_e32 v5, 0xffffff81, v4
	v_cndmask_b32_e32 v10, v10, v2, vcc
	v_add_u32_e32 v2, 20, v6
	v_cndmask_b32_e32 v19, v5, v25, vcc
	v_lshlrev_b64 v[4:5], v2, -1
	v_not_b32_e32 v2, v4
	v_and_b32_e32 v4, v10, v2
	v_add_u32_e32 v2, 19, v6
	v_lshrrev_b64 v[30:31], v6, v[10:11]
	v_lshlrev_b64 v[28:29], v2, 1
	v_lshrrev_b32_e32 v2, 23, v30
	v_mov_b32_e32 v5, v11
	v_add3_u32 v10, v6, v19, v2
	v_bfe_u32 v2, v30, 20, 1
	v_add_u32_e32 v2, -1, v2
	v_cmp_eq_u64_e32 vcc, v[4:5], v[28:29]
	v_cndmask_b32_e32 v2, 0, v2, vcc
	v_add_u32_e32 v2, v2, v30
	v_and_b32_e32 v2, 0xfffff, v2
	v_add_co_u32_e32 v4, vcc, v2, v30
	v_add_u32_e32 v6, 7, v10
	v_addc_co_u32_e32 v5, vcc, 0, v31, vcc
	v_cmp_ne_u32_e32 vcc, 0, v6
                                        ; implicit-def: $vgpr2
	s_and_saveexec_b64 s[0:1], vcc
	s_xor_b64 s[0:1], exec, s[0:1]
; %bb.60:                               ;   in Loop: Header=BB2_16 Depth=1
	v_add_u32_e32 v2, 8, v10
	v_cmp_lt_u64_e32 vcc, s[12:13], v[4:5]
	v_cndmask_b32_e32 v2, v6, v2, vcc
	v_cndmask_b32_e64 v6, 0, 1, vcc
	v_lshrrev_b64 v[4:5], v6, v[4:5]
; %bb.61:                               ;   in Loop: Header=BB2_16 Depth=1
	s_andn2_saveexec_b64 s[0:1], s[0:1]
; %bb.62:                               ;   in Loop: Header=BB2_16 Depth=1
	v_bfe_u32 v2, v4, 23, 1
; %bb.63:                               ;   in Loop: Header=BB2_16 Depth=1
	s_or_b64 exec, exec, s[0:1]
	v_lshrrev_b64 v[4:5], 20, v[4:5]
	v_cmp_gt_i32_e32 vcc, 16, v2
	v_and_b32_sdwa v1, v1, s29 dst_sel:DWORD dst_unused:UNUSED_PAD src0_sel:BYTE_3 src1_sel:DWORD
	v_min_i32_e32 v6, 15, v2
	v_cndmask_b32_e32 v5, 0, v5, vcc
	v_cndmask_b32_e32 v4, 7, v4, vcc
	v_cmp_eq_u32_e32 vcc, 0, v2
	v_cmp_eq_u64_e64 s[0:1], 0, v[4:5]
	v_lshl_or_b32 v1, v6, 3, v1
	v_and_or_b32 v1, v4, 7, v1
	s_and_b64 s[0:1], vcc, s[0:1]
	v_cndmask_b32_e64 v6, v1, 0, s[0:1]
.LBB2_64:                               ;   in Loop: Header=BB2_16 Depth=1
	s_or_b64 exec, exec, s[24:25]
.LBB2_65:                               ;   in Loop: Header=BB2_16 Depth=1
	s_andn2_saveexec_b64 s[0:1], s[22:23]
	s_or_b64 exec, exec, s[0:1]
.LBB2_66:                               ;   in Loop: Header=BB2_16 Depth=1
	s_andn2_saveexec_b64 s[0:1], s[16:17]
	s_or_b64 exec, exec, s[0:1]
	v_and_b32_e32 v10, 0x7f800000, v0
	v_or_b32_sdwa v4, v0, s27 dst_sel:DWORD dst_unused:UNUSED_PAD src0_sel:BYTE_3 src1_sel:DWORD
	v_cmp_ne_u64_e32 vcc, s[8:9], v[10:11]
	s_and_saveexec_b64 s[0:1], vcc
	s_xor_b64 s[16:17], exec, s[0:1]
	s_cbranch_execz .LBB2_76
; %bb.67:                               ;   in Loop: Header=BB2_16 Depth=1
	v_and_b32_e32 v10, 0x7fffffff, v0
	v_cmp_gt_u64_e32 vcc, s[10:11], v[10:11]
	s_and_saveexec_b64 s[0:1], vcc
	s_xor_b64 s[22:23], exec, s[0:1]
	s_cbranch_execz .LBB2_75
; %bb.68:                               ;   in Loop: Header=BB2_16 Depth=1
	v_cmp_ne_u32_e32 vcc, 0, v0
	v_mov_b32_e32 v4, 0
	s_and_saveexec_b64 s[24:25], vcc
	s_cbranch_execz .LBB2_74
; %bb.69:                               ;   in Loop: Header=BB2_16 Depth=1
	v_bfe_u32 v2, v0, 23, 8
	v_sub_u32_e32 v5, 0x78, v2
	v_cmp_gt_u32_e32 vcc, s28, v2
	v_and_b32_e32 v1, 0x7fffff, v0
	v_cndmask_b32_e32 v5, 0, v5, vcc
	v_cmp_eq_u32_e32 vcc, 0, v2
	v_or_b32_e32 v10, 0x800000, v1
	v_cndmask_b32_e32 v19, v5, v26, vcc
	v_add_u32_e32 v4, 0xffffff81, v2
	v_cndmask_b32_e32 v10, v10, v1, vcc
	v_add_u32_e32 v1, 20, v19
	v_cndmask_b32_e32 v2, v4, v25, vcc
	v_lshlrev_b64 v[4:5], v1, -1
	v_not_b32_e32 v1, v4
	v_and_b32_e32 v4, v10, v1
	v_add_u32_e32 v1, 19, v19
	v_lshrrev_b64 v[30:31], v19, v[10:11]
	v_lshlrev_b64 v[28:29], v1, 1
	v_lshrrev_b32_e32 v1, 23, v30
	v_mov_b32_e32 v5, v11
	v_add3_u32 v10, v19, v2, v1
	v_bfe_u32 v1, v30, 20, 1
	v_add_u32_e32 v1, -1, v1
	v_cmp_eq_u64_e32 vcc, v[4:5], v[28:29]
	v_cndmask_b32_e32 v1, 0, v1, vcc
	v_add_u32_e32 v1, v1, v30
	v_and_b32_e32 v1, 0xfffff, v1
	v_add_co_u32_e32 v4, vcc, v1, v30
	v_add_u32_e32 v2, 7, v10
	v_addc_co_u32_e32 v5, vcc, 0, v31, vcc
	v_cmp_ne_u32_e32 vcc, 0, v2
                                        ; implicit-def: $vgpr1
	s_and_saveexec_b64 s[0:1], vcc
	s_xor_b64 s[0:1], exec, s[0:1]
; %bb.70:                               ;   in Loop: Header=BB2_16 Depth=1
	v_add_u32_e32 v1, 8, v10
	v_cmp_lt_u64_e32 vcc, s[12:13], v[4:5]
	v_cndmask_b32_e32 v1, v2, v1, vcc
	v_cndmask_b32_e64 v2, 0, 1, vcc
	v_lshrrev_b64 v[4:5], v2, v[4:5]
; %bb.71:                               ;   in Loop: Header=BB2_16 Depth=1
	s_andn2_saveexec_b64 s[0:1], s[0:1]
; %bb.72:                               ;   in Loop: Header=BB2_16 Depth=1
	v_bfe_u32 v1, v4, 23, 1
; %bb.73:                               ;   in Loop: Header=BB2_16 Depth=1
	s_or_b64 exec, exec, s[0:1]
	v_lshrrev_b64 v[4:5], 20, v[4:5]
	v_cmp_gt_i32_e32 vcc, 16, v1
	v_and_b32_sdwa v0, v0, s29 dst_sel:DWORD dst_unused:UNUSED_PAD src0_sel:BYTE_3 src1_sel:DWORD
	v_min_i32_e32 v2, 15, v1
	v_cndmask_b32_e32 v5, 0, v5, vcc
	v_cndmask_b32_e32 v4, 7, v4, vcc
	v_cmp_eq_u32_e32 vcc, 0, v1
	v_cmp_eq_u64_e64 s[0:1], 0, v[4:5]
	v_lshl_or_b32 v0, v2, 3, v0
	v_and_or_b32 v0, v4, 7, v0
	s_and_b64 s[0:1], vcc, s[0:1]
	v_cndmask_b32_e64 v4, v0, 0, s[0:1]
.LBB2_74:                               ;   in Loop: Header=BB2_16 Depth=1
	s_or_b64 exec, exec, s[24:25]
.LBB2_75:                               ;   in Loop: Header=BB2_16 Depth=1
	s_andn2_saveexec_b64 s[0:1], s[22:23]
	s_or_b64 exec, exec, s[0:1]
.LBB2_76:                               ;   in Loop: Header=BB2_16 Depth=1
	s_andn2_saveexec_b64 s[0:1], s[16:17]
	s_or_b64 exec, exec, s[0:1]
	v_cvt_f32_f16_sdwa v1, v7 dst_sel:DWORD dst_unused:UNUSED_PAD src0_sel:WORD_1
	v_cvt_f32_f16_e32 v0, v7
	v_cvt_f32_f16_sdwa v29, v3 dst_sel:DWORD dst_unused:UNUSED_PAD src0_sel:WORD_1
	v_cvt_f32_f16_e32 v28, v3
	v_pk_mul_f32 v[0:1], v[0:1], v[28:29]
	v_pk_mul_f32 v[0:1], v[12:13], v[0:1]
	v_and_b32_e32 v10, 0x7f800000, v1
	v_or_b32_sdwa v5, v1, s27 dst_sel:DWORD dst_unused:UNUSED_PAD src0_sel:BYTE_3 src1_sel:DWORD
	v_cmp_ne_u64_e32 vcc, s[8:9], v[10:11]
	s_and_saveexec_b64 s[0:1], vcc
	s_xor_b64 s[16:17], exec, s[0:1]
	s_cbranch_execz .LBB2_86
; %bb.77:                               ;   in Loop: Header=BB2_16 Depth=1
	v_mov_b32_e32 v2, v1
	v_and_b32_e32 v10, 0x7fffffff, v2
	v_cmp_gt_u64_e32 vcc, s[10:11], v[10:11]
	s_and_saveexec_b64 s[0:1], vcc
	s_xor_b64 s[22:23], exec, s[0:1]
	s_cbranch_execz .LBB2_85
; %bb.78:                               ;   in Loop: Header=BB2_16 Depth=1
	v_cmp_ne_u32_e32 vcc, 0, v2
	v_mov_b32_e32 v5, 0
	s_and_saveexec_b64 s[24:25], vcc
	s_cbranch_execz .LBB2_84
; %bb.79:                               ;   in Loop: Header=BB2_16 Depth=1
	v_bfe_u32 v3, v1, 23, 8
	v_sub_u32_e32 v7, 0x78, v3
	v_cmp_gt_u32_e32 vcc, s28, v3
	v_and_b32_e32 v2, 0x7fffff, v2
	v_cndmask_b32_e32 v7, 0, v7, vcc
	v_cmp_eq_u32_e32 vcc, 0, v3
	v_or_b32_e32 v10, 0x800000, v2
	v_cndmask_b32_e32 v7, v7, v26, vcc
	v_cndmask_b32_e32 v10, v10, v2, vcc
	v_add_u32_e32 v2, 20, v7
	v_add_u32_e32 v5, 0xffffff81, v3
	v_lshlrev_b64 v[2:3], v2, -1
	v_not_b32_e32 v2, v2
	v_lshrrev_b64 v[30:31], v7, v[10:11]
	v_cndmask_b32_e32 v5, v5, v25, vcc
	v_and_b32_e32 v2, v10, v2
	v_add_u32_e32 v19, 19, v7
	v_lshrrev_b32_e32 v10, 23, v30
	v_mov_b32_e32 v3, v11
	v_lshlrev_b64 v[28:29], v19, 1
	v_add3_u32 v10, v7, v5, v10
	v_bfe_u32 v5, v30, 20, 1
	v_add_u32_e32 v5, -1, v5
	v_cmp_eq_u64_e32 vcc, v[2:3], v[28:29]
	v_cndmask_b32_e32 v2, 0, v5, vcc
	v_add_u32_e32 v2, v2, v30
	v_and_b32_e32 v2, 0xfffff, v2
	v_add_co_u32_e32 v2, vcc, v2, v30
	v_add_u32_e32 v7, 7, v10
	v_addc_co_u32_e32 v3, vcc, 0, v31, vcc
	v_cmp_ne_u32_e32 vcc, 0, v7
                                        ; implicit-def: $vgpr5
	s_and_saveexec_b64 s[0:1], vcc
	s_xor_b64 s[0:1], exec, s[0:1]
; %bb.80:                               ;   in Loop: Header=BB2_16 Depth=1
	v_add_u32_e32 v5, 8, v10
	v_cmp_lt_u64_e32 vcc, s[12:13], v[2:3]
	v_cndmask_b32_e32 v5, v7, v5, vcc
	v_cndmask_b32_e64 v7, 0, 1, vcc
	v_lshrrev_b64 v[2:3], v7, v[2:3]
; %bb.81:                               ;   in Loop: Header=BB2_16 Depth=1
	s_andn2_saveexec_b64 s[0:1], s[0:1]
; %bb.82:                               ;   in Loop: Header=BB2_16 Depth=1
	v_bfe_u32 v5, v2, 23, 1
; %bb.83:                               ;   in Loop: Header=BB2_16 Depth=1
	s_or_b64 exec, exec, s[0:1]
	v_lshrrev_b64 v[2:3], 20, v[2:3]
	v_cmp_gt_i32_e32 vcc, 16, v5
	v_and_b32_sdwa v1, v1, s29 dst_sel:DWORD dst_unused:UNUSED_PAD src0_sel:BYTE_3 src1_sel:DWORD
	v_min_i32_e32 v7, 15, v5
	v_cndmask_b32_e32 v3, 0, v3, vcc
	v_cndmask_b32_e32 v2, 7, v2, vcc
	v_cmp_eq_u32_e32 vcc, 0, v5
	v_cmp_eq_u64_e64 s[0:1], 0, v[2:3]
	v_lshl_or_b32 v1, v7, 3, v1
	v_and_or_b32 v1, v2, 7, v1
	s_and_b64 s[0:1], vcc, s[0:1]
	v_cndmask_b32_e64 v5, v1, 0, s[0:1]
.LBB2_84:                               ;   in Loop: Header=BB2_16 Depth=1
	s_or_b64 exec, exec, s[24:25]
.LBB2_85:                               ;   in Loop: Header=BB2_16 Depth=1
	s_andn2_saveexec_b64 s[0:1], s[22:23]
	s_or_b64 exec, exec, s[0:1]
.LBB2_86:                               ;   in Loop: Header=BB2_16 Depth=1
	s_andn2_saveexec_b64 s[0:1], s[16:17]
	s_or_b64 exec, exec, s[0:1]
	v_and_b32_e32 v10, 0x7f800000, v0
	v_or_b32_sdwa v1, v0, s27 dst_sel:DWORD dst_unused:UNUSED_PAD src0_sel:BYTE_3 src1_sel:DWORD
	v_cmp_ne_u64_e32 vcc, s[8:9], v[10:11]
	s_and_saveexec_b64 s[0:1], vcc
	s_xor_b64 s[16:17], exec, s[0:1]
	s_cbranch_execz .LBB2_15
; %bb.87:                               ;   in Loop: Header=BB2_16 Depth=1
	v_and_b32_e32 v10, 0x7fffffff, v0
	v_cmp_gt_u64_e32 vcc, s[10:11], v[10:11]
	s_and_saveexec_b64 s[0:1], vcc
	s_xor_b64 s[22:23], exec, s[0:1]
	s_cbranch_execz .LBB2_14
; %bb.88:                               ;   in Loop: Header=BB2_16 Depth=1
	v_cmp_ne_u32_e32 vcc, 0, v0
	v_mov_b32_e32 v1, 0
	s_and_saveexec_b64 s[24:25], vcc
	s_cbranch_execz .LBB2_13
; %bb.89:                               ;   in Loop: Header=BB2_16 Depth=1
	v_bfe_u32 v2, v0, 23, 8
	v_sub_u32_e32 v7, 0x78, v2
	v_cmp_gt_u32_e32 vcc, s28, v2
	v_and_b32_e32 v1, 0x7fffff, v0
	v_cndmask_b32_e32 v7, 0, v7, vcc
	v_cmp_eq_u32_e32 vcc, 0, v2
	v_or_b32_e32 v10, 0x800000, v1
	v_cndmask_b32_e32 v7, v7, v26, vcc
	v_add_u32_e32 v3, 0xffffff81, v2
	v_cndmask_b32_e32 v10, v10, v1, vcc
	v_add_u32_e32 v1, 20, v7
	v_cndmask_b32_e32 v19, v3, v25, vcc
	v_lshlrev_b64 v[2:3], v1, -1
	v_not_b32_e32 v1, v2
	v_and_b32_e32 v2, v10, v1
	v_add_u32_e32 v1, 19, v7
	v_lshrrev_b64 v[30:31], v7, v[10:11]
	v_lshlrev_b64 v[28:29], v1, 1
	v_lshrrev_b32_e32 v1, 23, v30
	v_mov_b32_e32 v3, v11
	v_add3_u32 v10, v7, v19, v1
	v_bfe_u32 v1, v30, 20, 1
	v_add_u32_e32 v1, -1, v1
	v_cmp_eq_u64_e32 vcc, v[2:3], v[28:29]
	v_cndmask_b32_e32 v1, 0, v1, vcc
	v_add_u32_e32 v1, v1, v30
	v_and_b32_e32 v1, 0xfffff, v1
	v_add_co_u32_e32 v2, vcc, v1, v30
	v_add_u32_e32 v7, 7, v10
	v_addc_co_u32_e32 v3, vcc, 0, v31, vcc
	v_cmp_ne_u32_e32 vcc, 0, v7
                                        ; implicit-def: $vgpr1
	s_and_saveexec_b64 s[0:1], vcc
	s_xor_b64 s[0:1], exec, s[0:1]
; %bb.90:                               ;   in Loop: Header=BB2_16 Depth=1
	v_add_u32_e32 v1, 8, v10
	v_cmp_lt_u64_e32 vcc, s[12:13], v[2:3]
	v_cndmask_b32_e32 v1, v7, v1, vcc
	v_cndmask_b32_e64 v7, 0, 1, vcc
	v_lshrrev_b64 v[2:3], v7, v[2:3]
; %bb.91:                               ;   in Loop: Header=BB2_16 Depth=1
	s_andn2_saveexec_b64 s[0:1], s[0:1]
	s_cbranch_execz .LBB2_12
; %bb.92:                               ;   in Loop: Header=BB2_16 Depth=1
	v_bfe_u32 v1, v2, 23, 1
	s_branch .LBB2_12
.LBB2_93:
	s_or_b64 exec, exec, s[2:3]
	v_cmp_gt_i32_e32 vcc, s18, v8
	s_and_saveexec_b64 s[0:1], vcc
	s_cbranch_execz .LBB2_96
; %bb.94:
	s_mul_i32 s0, s6, s18
	s_mov_b32 s1, 0
	s_lshl_b64 s[0:1], s[0:1], 1
	s_add_u32 s2, s20, s0
	s_addc_u32 s3, s21, s1
	v_mov_b32_e32 v0, 0
	s_mov_b64 s[0:1], 0
	v_mov_b32_e32 v4, s3
	v_mov_b32_e32 v1, v0
	;; [unrolled: 1-line block ×4, first 2 shown]
.LBB2_95:                               ; =>This Inner Loop Header: Depth=1
	v_ashrrev_i32_e32 v9, 31, v8
	v_lshlrev_b64 v[6:7], 1, v[8:9]
	v_add_co_u32_e32 v6, vcc, s2, v6
	v_addc_co_u32_e32 v7, vcc, v4, v7, vcc
	v_add_u32_e32 v8, s7, v8
	v_cmp_le_i32_e32 vcc, s18, v8
	s_or_b64 s[0:1], vcc, s[0:1]
	global_store_dwordx4 v[6:7], v[0:3], off
	s_andn2_b64 exec, exec, s[0:1]
	s_cbranch_execnz .LBB2_95
.LBB2_96:
	s_endpgm
	.section	.rodata,"a",@progbits
	.p2align	6, 0x0
	.amdhsa_kernel _Z24_residual_rms_vectorizedItLb1EEvPK6__halfPS0_S2_PKfPT_S3_fii
		.amdhsa_group_segment_fixed_size 32836
		.amdhsa_private_segment_fixed_size 0
		.amdhsa_kernarg_size 320
		.amdhsa_user_sgpr_count 6
		.amdhsa_user_sgpr_private_segment_buffer 1
		.amdhsa_user_sgpr_dispatch_ptr 0
		.amdhsa_user_sgpr_queue_ptr 0
		.amdhsa_user_sgpr_kernarg_segment_ptr 1
		.amdhsa_user_sgpr_dispatch_id 0
		.amdhsa_user_sgpr_flat_scratch_init 0
		.amdhsa_user_sgpr_kernarg_preload_length 0
		.amdhsa_user_sgpr_kernarg_preload_offset 0
		.amdhsa_user_sgpr_private_segment_size 0
		.amdhsa_uses_dynamic_stack 0
		.amdhsa_system_sgpr_private_segment_wavefront_offset 0
		.amdhsa_system_sgpr_workgroup_id_x 1
		.amdhsa_system_sgpr_workgroup_id_y 0
		.amdhsa_system_sgpr_workgroup_id_z 0
		.amdhsa_system_sgpr_workgroup_info 0
		.amdhsa_system_vgpr_workitem_id 0
		.amdhsa_next_free_vgpr 33
		.amdhsa_next_free_sgpr 32
		.amdhsa_accum_offset 36
		.amdhsa_reserve_vcc 1
		.amdhsa_reserve_flat_scratch 0
		.amdhsa_float_round_mode_32 0
		.amdhsa_float_round_mode_16_64 0
		.amdhsa_float_denorm_mode_32 3
		.amdhsa_float_denorm_mode_16_64 3
		.amdhsa_dx10_clamp 1
		.amdhsa_ieee_mode 1
		.amdhsa_fp16_overflow 0
		.amdhsa_tg_split 0
		.amdhsa_exception_fp_ieee_invalid_op 0
		.amdhsa_exception_fp_denorm_src 0
		.amdhsa_exception_fp_ieee_div_zero 0
		.amdhsa_exception_fp_ieee_overflow 0
		.amdhsa_exception_fp_ieee_underflow 0
		.amdhsa_exception_fp_ieee_inexact 0
		.amdhsa_exception_int_div_zero 0
	.end_amdhsa_kernel
	.section	.text._Z24_residual_rms_vectorizedItLb1EEvPK6__halfPS0_S2_PKfPT_S3_fii,"axG",@progbits,_Z24_residual_rms_vectorizedItLb1EEvPK6__halfPS0_S2_PKfPT_S3_fii,comdat
.Lfunc_end2:
	.size	_Z24_residual_rms_vectorizedItLb1EEvPK6__halfPS0_S2_PKfPT_S3_fii, .Lfunc_end2-_Z24_residual_rms_vectorizedItLb1EEvPK6__halfPS0_S2_PKfPT_S3_fii
                                        ; -- End function
	.section	.AMDGPU.csdata,"",@progbits
; Kernel info:
; codeLenInByte = 5088
; NumSgprs: 36
; NumVgprs: 33
; NumAgprs: 0
; TotalNumVgprs: 33
; ScratchSize: 0
; MemoryBound: 0
; FloatMode: 240
; IeeeMode: 1
; LDSByteSize: 32836 bytes/workgroup (compile time only)
; SGPRBlocks: 4
; VGPRBlocks: 4
; NumSGPRsForWavesPerEU: 36
; NumVGPRsForWavesPerEU: 33
; AccumOffset: 36
; Occupancy: 4
; WaveLimiterHint : 0
; COMPUTE_PGM_RSRC2:SCRATCH_EN: 0
; COMPUTE_PGM_RSRC2:USER_SGPR: 6
; COMPUTE_PGM_RSRC2:TRAP_HANDLER: 0
; COMPUTE_PGM_RSRC2:TGID_X_EN: 1
; COMPUTE_PGM_RSRC2:TGID_Y_EN: 0
; COMPUTE_PGM_RSRC2:TGID_Z_EN: 0
; COMPUTE_PGM_RSRC2:TIDIG_COMP_CNT: 0
; COMPUTE_PGM_RSRC3_GFX90A:ACCUM_OFFSET: 8
; COMPUTE_PGM_RSRC3_GFX90A:TG_SPLIT: 0
	.section	.text._Z20_residual_rms_scalarIhLb1EEvPK6__halfPS0_S2_PKfPT_S3_fii,"axG",@progbits,_Z20_residual_rms_scalarIhLb1EEvPK6__halfPS0_S2_PKfPT_S3_fii,comdat
	.protected	_Z20_residual_rms_scalarIhLb1EEvPK6__halfPS0_S2_PKfPT_S3_fii ; -- Begin function _Z20_residual_rms_scalarIhLb1EEvPK6__halfPS0_S2_PKfPT_S3_fii
	.globl	_Z20_residual_rms_scalarIhLb1EEvPK6__halfPS0_S2_PKfPT_S3_fii
	.p2align	8
	.type	_Z20_residual_rms_scalarIhLb1EEvPK6__halfPS0_S2_PKfPT_S3_fii,@function
_Z20_residual_rms_scalarIhLb1EEvPK6__halfPS0_S2_PKfPT_S3_fii: ; @_Z20_residual_rms_scalarIhLb1EEvPK6__halfPS0_S2_PKfPT_S3_fii
; %bb.0:
	s_load_dwordx4 s[16:19], s[4:5], 0x30
	s_load_dwordx2 s[0:1], s[4:5], 0x8
	s_mov_b32 s21, 0
                                        ; implicit-def: $sgpr26
	s_waitcnt lgkmcnt(0)
	s_mul_i32 s20, s6, s17
	s_lshl_b64 s[22:23], s[20:21], 1
	s_add_u32 s7, s0, s22
	s_addc_u32 s19, s1, s23
	s_add_u32 s24, s4, 64
	v_cmp_gt_i32_e64 s[0:1], s17, v0
	v_cmp_le_i32_e32 vcc, s17, v0
	s_addc_u32 s25, s5, 0
	s_and_saveexec_b64 s[2:3], vcc
	s_xor_b64 s[2:3], exec, s[2:3]
	s_cbranch_execz .LBB3_2
; %bb.1:
	s_load_dword s8, s[24:25], 0xc
	s_waitcnt lgkmcnt(0)
	s_and_b32 s26, s8, 0xffff
.LBB3_2:
	s_or_saveexec_b64 s[2:3], s[2:3]
	s_load_dwordx8 s[8:15], s[4:5], 0x10
	v_mov_b32_e32 v4, s21
	v_mov_b32_e32 v8, s26
	s_xor_b64 exec, exec, s[2:3]
	s_cbranch_execz .LBB3_6
; %bb.3:
	s_load_dwordx2 s[26:27], s[4:5], 0x0
	s_load_dword s21, s[24:25], 0xc
	s_mov_b64 s[4:5], 0
	v_mov_b32_e32 v4, 0
	v_mov_b32_e32 v5, s19
	s_waitcnt lgkmcnt(0)
	s_add_u32 s22, s26, s22
	s_addc_u32 s23, s27, s23
	s_and_b32 s21, s21, 0xffff
	v_mov_b32_e32 v1, s23
	v_mov_b32_e32 v2, v0
.LBB3_4:                                ; =>This Inner Loop Header: Depth=1
	v_ashrrev_i32_e32 v3, 31, v2
	v_lshlrev_b64 v[6:7], 1, v[2:3]
	v_add_co_u32_e32 v8, vcc, s22, v6
	v_addc_co_u32_e32 v9, vcc, v1, v7, vcc
	v_add_co_u32_e32 v6, vcc, s7, v6
	v_addc_co_u32_e32 v7, vcc, v5, v7, vcc
	global_load_ushort v3, v[8:9], off
	v_add_u32_e32 v2, s21, v2
	global_load_ushort v8, v[6:7], off
	v_cmp_le_i32_e32 vcc, s17, v2
	s_or_b64 s[4:5], vcc, s[4:5]
	s_waitcnt vmcnt(0)
	v_add_f16_e32 v3, v3, v8
	v_fma_mix_f32 v4, v3, v3, v4 op_sel_hi:[1,1,0]
	global_store_short v[6:7], v3, off
	s_andn2_b64 exec, exec, s[4:5]
	s_cbranch_execnz .LBB3_4
; %bb.5:
	s_or_b64 exec, exec, s[4:5]
	v_mov_b32_e32 v8, s21
.LBB3_6:
	s_or_b64 exec, exec, s[2:3]
	v_cvt_f32_i32_e32 v2, s17
	v_mbcnt_lo_u32_b32 v1, -1, 0
	v_mbcnt_hi_u32_b32 v1, -1, v1
	v_div_scale_f32 v3, s[2:3], v2, v2, v4
	v_rcp_f32_e32 v5, v3
	v_div_scale_f32 v6, vcc, v4, v2, v4
	v_fma_f32 v7, -v3, v5, 1.0
	v_fmac_f32_e32 v5, v7, v5
	v_mul_f32_e32 v7, v6, v5
	v_fma_f32 v9, -v3, v7, v6
	v_fmac_f32_e32 v7, v9, v5
	v_fma_f32 v3, -v3, v7, v6
	v_div_fmas_f32 v3, v3, v5, v7
	v_div_fixup_f32 v2, v3, v2, v4
	v_and_b32_e32 v3, 63, v1
	v_cmp_ne_u32_e32 vcc, 63, v3
	v_addc_co_u32_e32 v4, vcc, 0, v1, vcc
	v_lshlrev_b32_e32 v4, 2, v4
	ds_bpermute_b32 v4, v4, v2
	v_and_b32_e32 v5, 0x3c0, v0
	v_sub_u32_e64 v5, v8, v5 clamp
	v_add_u32_e32 v6, 1, v1
	v_cmp_lt_u32_e32 vcc, v6, v5
	s_waitcnt lgkmcnt(0)
	v_add_f32_e32 v4, v2, v4
	v_cndmask_b32_e32 v2, v2, v4, vcc
	v_cmp_gt_u32_e32 vcc, 62, v3
	v_cndmask_b32_e64 v4, 0, 1, vcc
	v_lshlrev_b32_e32 v4, 1, v4
	v_add_lshl_u32 v4, v4, v1, 2
	ds_bpermute_b32 v4, v4, v2
	v_add_u32_e32 v6, 2, v1
	v_cmp_lt_u32_e32 vcc, v6, v5
	v_add_u32_e32 v6, 4, v1
	s_waitcnt lgkmcnt(0)
	v_add_f32_e32 v4, v2, v4
	v_cndmask_b32_e32 v2, v2, v4, vcc
	v_cmp_gt_u32_e32 vcc, 60, v3
	v_cndmask_b32_e64 v4, 0, 1, vcc
	v_lshlrev_b32_e32 v4, 2, v4
	v_add_lshl_u32 v4, v4, v1, 2
	ds_bpermute_b32 v4, v4, v2
	v_cmp_lt_u32_e32 vcc, v6, v5
	v_add_u32_e32 v6, 8, v1
	s_waitcnt lgkmcnt(0)
	v_add_f32_e32 v4, v2, v4
	v_cndmask_b32_e32 v2, v2, v4, vcc
	v_cmp_gt_u32_e32 vcc, 56, v3
	v_cndmask_b32_e64 v4, 0, 1, vcc
	v_lshlrev_b32_e32 v4, 3, v4
	v_add_lshl_u32 v4, v4, v1, 2
	ds_bpermute_b32 v4, v4, v2
	;; [unrolled: 10-line block ×3, first 2 shown]
	v_cmp_lt_u32_e32 vcc, v6, v5
	s_waitcnt lgkmcnt(0)
	v_add_f32_e32 v4, v2, v4
	v_cndmask_b32_e32 v2, v2, v4, vcc
	v_cmp_gt_u32_e32 vcc, 32, v3
	v_cndmask_b32_e64 v3, 0, 1, vcc
	v_lshlrev_b32_e32 v3, 5, v3
	v_add_lshl_u32 v3, v3, v1, 2
	ds_bpermute_b32 v3, v3, v2
	v_add_u32_e32 v4, 32, v1
	v_cmp_lt_u32_e32 vcc, v4, v5
	s_waitcnt lgkmcnt(0)
	v_add_f32_e32 v3, v2, v3
	v_cndmask_b32_e32 v2, v2, v3, vcc
	v_cmp_eq_u32_e32 vcc, 0, v1
	s_and_saveexec_b64 s[2:3], vcc
	s_cbranch_execz .LBB3_8
; %bb.7:
	v_lshrrev_b32_e32 v3, 4, v0
	v_and_b32_e32 v3, 60, v3
	ds_write_b32 v3, v2
.LBB3_8:
	s_or_b64 exec, exec, s[2:3]
	v_cmp_gt_u32_e32 vcc, 16, v0
	s_waitcnt lgkmcnt(0)
	s_barrier
	s_and_saveexec_b64 s[4:5], vcc
	s_cbranch_execz .LBB3_10
; %bb.9:
	v_lshlrev_b32_e32 v2, 2, v1
	ds_read_b32 v2, v2
	v_and_b32_e32 v3, 15, v1
	v_cmp_ne_u32_e32 vcc, 15, v3
	v_addc_co_u32_e32 v4, vcc, 0, v1, vcc
	v_lshlrev_b32_e32 v4, 2, v4
	s_waitcnt lgkmcnt(0)
	ds_bpermute_b32 v4, v4, v2
	v_add_u32_e32 v5, 63, v8
	v_lshrrev_b32_e32 v5, 6, v5
	v_add_u32_e32 v6, 1, v3
	v_cmp_gt_u32_e64 s[2:3], 14, v3
	v_cmp_lt_u32_e32 vcc, v6, v5
	v_cndmask_b32_e64 v6, 0, 1, s[2:3]
	s_waitcnt lgkmcnt(0)
	v_add_f32_e32 v4, v2, v4
	v_lshlrev_b32_e32 v6, 1, v6
	v_cndmask_b32_e32 v4, v2, v4, vcc
	v_add_lshl_u32 v6, v6, v1, 2
	ds_bpermute_b32 v6, v6, v4
	v_add_u32_e32 v7, 2, v3
	v_cmp_lt_u32_e64 s[2:3], v7, v5
	v_add_u32_e32 v7, 4, v3
	s_waitcnt lgkmcnt(0)
	v_add_f32_e32 v6, v4, v6
	v_cndmask_b32_e64 v4, v4, v6, s[2:3]
	v_cmp_gt_u32_e64 s[2:3], 12, v3
	v_cndmask_b32_e64 v6, 0, 1, s[2:3]
	v_lshlrev_b32_e32 v6, 2, v6
	v_add_lshl_u32 v6, v6, v1, 2
	ds_bpermute_b32 v6, v6, v4
	v_cmp_lt_u32_e64 s[2:3], v7, v5
	s_waitcnt lgkmcnt(0)
	v_add_f32_e32 v6, v4, v6
	v_cndmask_b32_e64 v4, v4, v6, s[2:3]
	v_cmp_gt_u32_e64 s[2:3], 8, v3
	v_cndmask_b32_e64 v6, 0, 1, s[2:3]
	v_lshlrev_b32_e32 v6, 3, v6
	v_add_lshl_u32 v1, v6, v1, 2
	ds_bpermute_b32 v1, v1, v4
	v_add_u32_e32 v3, 8, v3
	v_cmp_lt_u32_e64 s[2:3], v3, v5
	s_waitcnt lgkmcnt(0)
	v_add_f32_e32 v1, v4, v1
	v_cndmask_b32_e64 v1, v4, v1, s[2:3]
	v_cndmask_b32_e32 v2, v2, v1, vcc
.LBB3_10:
	s_or_b64 exec, exec, s[4:5]
	v_cmp_eq_u32_e32 vcc, 0, v0
	s_and_saveexec_b64 s[2:3], vcc
	s_cbranch_execz .LBB3_12
; %bb.11:
	v_add_f32_e32 v1, s16, v2
	s_mov_b32 s4, 0x800000
	v_mul_f32_e32 v2, 0x4b800000, v1
	v_cmp_gt_f32_e32 vcc, s4, v1
	v_cndmask_b32_e32 v1, v1, v2, vcc
	v_rsq_f32_e32 v1, v1
	v_mul_f32_e32 v2, 0x45800000, v1
	v_cndmask_b32_e32 v1, v1, v2, vcc
	v_mov_b32_e32 v2, 0
	ds_write_b32 v2, v1 offset:64
.LBB3_12:
	s_or_b64 exec, exec, s[2:3]
	s_waitcnt lgkmcnt(0)
	s_barrier
	s_and_saveexec_b64 s[2:3], s[0:1]
	s_cbranch_execz .LBB3_25
; %bb.13:
	s_load_dword s4, s[10:11], 0x0
	v_mov_b32_e32 v3, 0
	ds_read_b32 v9, v3 offset:64
	s_add_u32 s16, s12, s20
	v_mov_b32_e32 v10, s19
	s_waitcnt lgkmcnt(0)
	v_div_scale_f32 v1, s[0:1], s4, s4, 1.0
	v_rcp_f32_e32 v2, v1
	v_div_scale_f32 v4, vcc, 1.0, s4, 1.0
	s_addc_u32 s0, s13, 0
	v_fma_f32 v5, -v1, v2, 1.0
	v_fmac_f32_e32 v2, v5, v2
	v_mul_f32_e32 v5, v4, v2
	v_fma_f32 v6, -v1, v5, v4
	v_fmac_f32_e32 v5, v6, v2
	v_fma_f32 v1, -v1, v5, v4
	v_div_fmas_f32 v1, v1, v2, v5
	v_div_fixup_f32 v1, v1, s4, 1.0
	s_mov_b64 s[4:5], 0
	v_mov_b32_e32 v11, s9
	s_mov_b32 s9, 0x43e00000
	v_mov_b32_e32 v12, 0x43e00000
	s_mov_b32 s19, 0xc3e00000
	v_mov_b32_e32 v13, 0xc3e00000
	s_movk_i32 s28, 0x7f
	s_mov_b64 s[10:11], 0x7f800000
	s_mov_b64 s[12:13], 0x43700001
	s_movk_i32 s29, 0x79
	s_mov_b64 s[20:21], 0xffffff
	s_movk_i32 s30, 0x80
	v_mov_b32_e32 v14, 0xffffff82
	v_mov_b32_e32 v15, 0x77
	;; [unrolled: 1-line block ×4, first 2 shown]
	s_branch .LBB3_18
.LBB3_14:                               ;   in Loop: Header=BB3_18 Depth=1
	s_or_b64 exec, exec, s[0:1]
	v_lshrrev_b64 v[6:7], 20, v[6:7]
	v_cmp_gt_i32_e32 vcc, 16, v2
	v_and_b32_sdwa v17, v17, s30 dst_sel:DWORD dst_unused:UNUSED_PAD src0_sel:BYTE_3 src1_sel:DWORD
	v_min_i32_e32 v18, 15, v2
	v_cndmask_b32_e32 v7, 0, v7, vcc
	v_cndmask_b32_e32 v6, 7, v6, vcc
	v_cmp_eq_u32_e32 vcc, 0, v2
	v_cmp_eq_u64_e64 s[0:1], 0, v[6:7]
	v_lshl_or_b32 v2, v18, 3, v17
	v_and_or_b32 v2, v6, 7, v2
	s_and_b64 s[0:1], vcc, s[0:1]
	v_cndmask_b32_e64 v6, v2, 0, s[0:1]
.LBB3_15:                               ;   in Loop: Header=BB3_18 Depth=1
	s_or_b64 exec, exec, s[26:27]
.LBB3_16:                               ;   in Loop: Header=BB3_18 Depth=1
	s_andn2_saveexec_b64 s[0:1], s[24:25]
	s_or_b64 exec, exec, s[0:1]
.LBB3_17:                               ;   in Loop: Header=BB3_18 Depth=1
	s_andn2_saveexec_b64 s[0:1], s[22:23]
	s_or_b64 exec, exec, s[0:1]
	v_add_co_u32_e32 v18, vcc, s16, v4
	v_addc_co_u32_e32 v19, vcc, v16, v5, vcc
	v_add_u32_e32 v4, v4, v8
	v_cmp_le_i32_e32 vcc, s17, v4
	s_or_b64 s[4:5], vcc, s[4:5]
	global_store_byte v[18:19], v6, off
	s_andn2_b64 exec, exec, s[4:5]
	s_cbranch_execz .LBB3_25
.LBB3_18:                               ; =>This Inner Loop Header: Depth=1
	v_ashrrev_i32_e32 v5, 31, v4
	v_lshlrev_b64 v[6:7], 1, v[4:5]
	v_add_co_u32_e32 v18, vcc, s7, v6
	v_addc_co_u32_e32 v19, vcc, v10, v7, vcc
	v_add_co_u32_e32 v6, vcc, s8, v6
	global_load_ushort v2, v[18:19], off
	v_addc_co_u32_e32 v7, vcc, v11, v7, vcc
	global_load_ushort v6, v[6:7], off
	s_waitcnt vmcnt(1)
	v_fma_mixlo_f16 v2, v9, v2, 0 op_sel_hi:[0,1,0]
	s_waitcnt vmcnt(0)
	v_mul_f16_e32 v2, v6, v2
	v_cvt_f32_f16_e32 v2, v2
	v_mul_f32_e32 v2, v1, v2
	v_cmp_nlt_f32_e32 vcc, s9, v2
	v_cndmask_b32_e32 v2, v12, v2, vcc
	v_cmp_ngt_f32_e32 vcc, s19, v2
	v_cndmask_b32_e32 v17, v13, v2, vcc
	v_and_b32_e32 v2, 0x7f800000, v17
	v_or_b32_sdwa v6, v17, s28 dst_sel:DWORD dst_unused:UNUSED_PAD src0_sel:BYTE_3 src1_sel:DWORD
	v_cmp_ne_u64_e32 vcc, s[10:11], v[2:3]
	s_and_saveexec_b64 s[0:1], vcc
	s_xor_b64 s[22:23], exec, s[0:1]
	s_cbranch_execz .LBB3_17
; %bb.19:                               ;   in Loop: Header=BB3_18 Depth=1
	v_and_b32_e32 v2, 0x7fffffff, v17
	v_cmp_gt_u64_e32 vcc, s[12:13], v[2:3]
	s_and_saveexec_b64 s[0:1], vcc
	s_xor_b64 s[24:25], exec, s[0:1]
	s_cbranch_execz .LBB3_16
; %bb.20:                               ;   in Loop: Header=BB3_18 Depth=1
	v_cmp_ne_u32_e32 vcc, 0, v17
	v_mov_b32_e32 v6, 0
	s_and_saveexec_b64 s[26:27], vcc
	s_cbranch_execz .LBB3_15
; %bb.21:                               ;   in Loop: Header=BB3_18 Depth=1
	v_bfe_u32 v6, v17, 23, 8
	v_sub_u32_e32 v18, 0x78, v6
	v_cmp_gt_u32_e32 vcc, s29, v6
	v_cndmask_b32_e32 v18, 0, v18, vcc
	v_cmp_eq_u32_e32 vcc, 0, v6
	v_and_b32_e32 v2, 0x7fffff, v17
	v_cndmask_b32_e32 v18, v18, v15, vcc
	v_add_u32_e32 v7, 0xffffff81, v6
	v_or_b32_e32 v19, 0x800000, v2
	v_add_u32_e32 v6, 20, v18
	v_cndmask_b32_e32 v24, v7, v14, vcc
	v_cndmask_b32_e32 v2, v19, v2, vcc
	v_lshlrev_b64 v[6:7], v6, -1
	v_not_b32_e32 v6, v6
	v_lshrrev_b64 v[22:23], v18, v[2:3]
	v_and_b32_e32 v6, v2, v6
	v_add_u32_e32 v19, 19, v18
	v_lshrrev_b32_e32 v2, 23, v22
	v_mov_b32_e32 v7, v3
	v_lshlrev_b64 v[20:21], v19, 1
	v_add3_u32 v19, v18, v24, v2
	v_bfe_u32 v2, v22, 20, 1
	v_add_u32_e32 v2, -1, v2
	v_cmp_eq_u64_e32 vcc, v[6:7], v[20:21]
	v_cndmask_b32_e32 v2, 0, v2, vcc
	v_add_u32_e32 v2, v2, v22
	v_and_b32_e32 v2, 0xfffff, v2
	v_add_co_u32_e32 v6, vcc, v2, v22
	v_add_u32_e32 v18, 7, v19
	v_addc_co_u32_e32 v7, vcc, 0, v23, vcc
	v_cmp_ne_u32_e32 vcc, 0, v18
                                        ; implicit-def: $vgpr2
	s_and_saveexec_b64 s[0:1], vcc
	s_xor_b64 s[0:1], exec, s[0:1]
; %bb.22:                               ;   in Loop: Header=BB3_18 Depth=1
	v_add_u32_e32 v2, 8, v19
	v_cmp_lt_u64_e32 vcc, s[20:21], v[6:7]
	v_cndmask_b32_e32 v2, v18, v2, vcc
	v_cndmask_b32_e64 v18, 0, 1, vcc
	v_lshrrev_b64 v[6:7], v18, v[6:7]
; %bb.23:                               ;   in Loop: Header=BB3_18 Depth=1
	s_andn2_saveexec_b64 s[0:1], s[0:1]
	s_cbranch_execz .LBB3_14
; %bb.24:                               ;   in Loop: Header=BB3_18 Depth=1
	v_bfe_u32 v2, v6, 23, 1
	s_branch .LBB3_14
.LBB3_25:
	s_or_b64 exec, exec, s[2:3]
	v_cmp_gt_i32_e32 vcc, s18, v0
	s_and_saveexec_b64 s[0:1], vcc
	s_cbranch_execz .LBB3_28
; %bb.26:
	s_mul_i32 s0, s6, s18
	s_mov_b32 s1, 0
	s_lshl_b64 s[0:1], s[0:1], 1
	s_add_u32 s2, s14, s0
	s_addc_u32 s3, s15, s1
	s_mov_b64 s[0:1], 0
	v_mov_b32_e32 v2, s3
	v_mov_b32_e32 v3, 0
.LBB3_27:                               ; =>This Inner Loop Header: Depth=1
	v_ashrrev_i32_e32 v1, 31, v0
	v_lshlrev_b64 v[4:5], 1, v[0:1]
	v_add_co_u32_e32 v4, vcc, s2, v4
	v_addc_co_u32_e32 v5, vcc, v2, v5, vcc
	v_add_u32_e32 v0, v0, v8
	v_cmp_le_i32_e32 vcc, s18, v0
	s_or_b64 s[0:1], vcc, s[0:1]
	global_store_short v[4:5], v3, off
	s_andn2_b64 exec, exec, s[0:1]
	s_cbranch_execnz .LBB3_27
.LBB3_28:
	s_endpgm
	.section	.rodata,"a",@progbits
	.p2align	6, 0x0
	.amdhsa_kernel _Z20_residual_rms_scalarIhLb1EEvPK6__halfPS0_S2_PKfPT_S3_fii
		.amdhsa_group_segment_fixed_size 68
		.amdhsa_private_segment_fixed_size 0
		.amdhsa_kernarg_size 320
		.amdhsa_user_sgpr_count 6
		.amdhsa_user_sgpr_private_segment_buffer 1
		.amdhsa_user_sgpr_dispatch_ptr 0
		.amdhsa_user_sgpr_queue_ptr 0
		.amdhsa_user_sgpr_kernarg_segment_ptr 1
		.amdhsa_user_sgpr_dispatch_id 0
		.amdhsa_user_sgpr_flat_scratch_init 0
		.amdhsa_user_sgpr_kernarg_preload_length 0
		.amdhsa_user_sgpr_kernarg_preload_offset 0
		.amdhsa_user_sgpr_private_segment_size 0
		.amdhsa_uses_dynamic_stack 0
		.amdhsa_system_sgpr_private_segment_wavefront_offset 0
		.amdhsa_system_sgpr_workgroup_id_x 1
		.amdhsa_system_sgpr_workgroup_id_y 0
		.amdhsa_system_sgpr_workgroup_id_z 0
		.amdhsa_system_sgpr_workgroup_info 0
		.amdhsa_system_vgpr_workitem_id 0
		.amdhsa_next_free_vgpr 25
		.amdhsa_next_free_sgpr 31
		.amdhsa_accum_offset 28
		.amdhsa_reserve_vcc 1
		.amdhsa_reserve_flat_scratch 0
		.amdhsa_float_round_mode_32 0
		.amdhsa_float_round_mode_16_64 0
		.amdhsa_float_denorm_mode_32 3
		.amdhsa_float_denorm_mode_16_64 3
		.amdhsa_dx10_clamp 1
		.amdhsa_ieee_mode 1
		.amdhsa_fp16_overflow 0
		.amdhsa_tg_split 0
		.amdhsa_exception_fp_ieee_invalid_op 0
		.amdhsa_exception_fp_denorm_src 0
		.amdhsa_exception_fp_ieee_div_zero 0
		.amdhsa_exception_fp_ieee_overflow 0
		.amdhsa_exception_fp_ieee_underflow 0
		.amdhsa_exception_fp_ieee_inexact 0
		.amdhsa_exception_int_div_zero 0
	.end_amdhsa_kernel
	.section	.text._Z20_residual_rms_scalarIhLb1EEvPK6__halfPS0_S2_PKfPT_S3_fii,"axG",@progbits,_Z20_residual_rms_scalarIhLb1EEvPK6__halfPS0_S2_PKfPT_S3_fii,comdat
.Lfunc_end3:
	.size	_Z20_residual_rms_scalarIhLb1EEvPK6__halfPS0_S2_PKfPT_S3_fii, .Lfunc_end3-_Z20_residual_rms_scalarIhLb1EEvPK6__halfPS0_S2_PKfPT_S3_fii
                                        ; -- End function
	.section	.AMDGPU.csdata,"",@progbits
; Kernel info:
; codeLenInByte = 1924
; NumSgprs: 35
; NumVgprs: 25
; NumAgprs: 0
; TotalNumVgprs: 25
; ScratchSize: 0
; MemoryBound: 0
; FloatMode: 240
; IeeeMode: 1
; LDSByteSize: 68 bytes/workgroup (compile time only)
; SGPRBlocks: 4
; VGPRBlocks: 3
; NumSGPRsForWavesPerEU: 35
; NumVGPRsForWavesPerEU: 25
; AccumOffset: 28
; Occupancy: 8
; WaveLimiterHint : 0
; COMPUTE_PGM_RSRC2:SCRATCH_EN: 0
; COMPUTE_PGM_RSRC2:USER_SGPR: 6
; COMPUTE_PGM_RSRC2:TRAP_HANDLER: 0
; COMPUTE_PGM_RSRC2:TGID_X_EN: 1
; COMPUTE_PGM_RSRC2:TGID_Y_EN: 0
; COMPUTE_PGM_RSRC2:TGID_Z_EN: 0
; COMPUTE_PGM_RSRC2:TIDIG_COMP_CNT: 0
; COMPUTE_PGM_RSRC3_GFX90A:ACCUM_OFFSET: 6
; COMPUTE_PGM_RSRC3_GFX90A:TG_SPLIT: 0
	.text
	.p2alignl 6, 3212836864
	.fill 256, 4, 3212836864
	.type	__hip_cuid_ba7fd5b1a5c5396d,@object ; @__hip_cuid_ba7fd5b1a5c5396d
	.section	.bss,"aw",@nobits
	.globl	__hip_cuid_ba7fd5b1a5c5396d
__hip_cuid_ba7fd5b1a5c5396d:
	.byte	0                               ; 0x0
	.size	__hip_cuid_ba7fd5b1a5c5396d, 1

	.ident	"AMD clang version 19.0.0git (https://github.com/RadeonOpenCompute/llvm-project roc-6.4.0 25133 c7fe45cf4b819c5991fe208aaa96edf142730f1d)"
	.section	".note.GNU-stack","",@progbits
	.addrsig
	.addrsig_sym __hip_cuid_ba7fd5b1a5c5396d
	.amdgpu_metadata
---
amdhsa.kernels:
  - .agpr_count:     0
    .args:
      - .actual_access:  read_only
        .address_space:  global
        .offset:         0
        .size:           8
        .value_kind:     global_buffer
      - .address_space:  global
        .offset:         8
        .size:           8
        .value_kind:     global_buffer
      - .actual_access:  read_only
        .address_space:  global
        .offset:         16
        .size:           8
        .value_kind:     global_buffer
      - .actual_access:  read_only
        .address_space:  global
        .offset:         24
        .size:           8
        .value_kind:     global_buffer
      - .actual_access:  write_only
        .address_space:  global
        .offset:         32
        .size:           8
        .value_kind:     global_buffer
      - .actual_access:  read_only
        .address_space:  global
        .offset:         40
        .size:           8
        .value_kind:     global_buffer
      - .offset:         48
        .size:           4
        .value_kind:     by_value
      - .offset:         52
        .size:           4
        .value_kind:     by_value
      - .offset:         56
        .size:           4
        .value_kind:     by_value
      - .offset:         64
        .size:           4
        .value_kind:     hidden_block_count_x
      - .offset:         68
        .size:           4
        .value_kind:     hidden_block_count_y
      - .offset:         72
        .size:           4
        .value_kind:     hidden_block_count_z
      - .offset:         76
        .size:           2
        .value_kind:     hidden_group_size_x
      - .offset:         78
        .size:           2
        .value_kind:     hidden_group_size_y
      - .offset:         80
        .size:           2
        .value_kind:     hidden_group_size_z
      - .offset:         82
        .size:           2
        .value_kind:     hidden_remainder_x
      - .offset:         84
        .size:           2
        .value_kind:     hidden_remainder_y
      - .offset:         86
        .size:           2
        .value_kind:     hidden_remainder_z
      - .offset:         104
        .size:           8
        .value_kind:     hidden_global_offset_x
      - .offset:         112
        .size:           8
        .value_kind:     hidden_global_offset_y
      - .offset:         120
        .size:           8
        .value_kind:     hidden_global_offset_z
      - .offset:         128
        .size:           2
        .value_kind:     hidden_grid_dims
    .group_segment_fixed_size: 32836
    .kernarg_segment_align: 8
    .kernarg_segment_size: 320
    .language:       OpenCL C
    .language_version:
      - 2
      - 0
    .max_flat_workgroup_size: 1024
    .name:           _Z24_residual_rms_vectorizedI7__half2Lb0EEvPK6__halfPS1_S3_PKfPT_S4_fii
    .private_segment_fixed_size: 0
    .sgpr_count:     27
    .sgpr_spill_count: 0
    .symbol:         _Z24_residual_rms_vectorizedI7__half2Lb0EEvPK6__halfPS1_S3_PKfPT_S4_fii.kd
    .uniform_work_group_size: 1
    .uses_dynamic_stack: false
    .vgpr_count:     26
    .vgpr_spill_count: 0
    .wavefront_size: 64
  - .agpr_count:     0
    .args:
      - .actual_access:  read_only
        .address_space:  global
        .offset:         0
        .size:           8
        .value_kind:     global_buffer
      - .address_space:  global
        .offset:         8
        .size:           8
        .value_kind:     global_buffer
      - .actual_access:  read_only
        .address_space:  global
        .offset:         16
        .size:           8
        .value_kind:     global_buffer
      - .actual_access:  read_only
        .address_space:  global
        .offset:         24
        .size:           8
        .value_kind:     global_buffer
      - .actual_access:  write_only
        .address_space:  global
        .offset:         32
        .size:           8
        .value_kind:     global_buffer
      - .actual_access:  read_only
        .address_space:  global
        .offset:         40
        .size:           8
        .value_kind:     global_buffer
      - .offset:         48
        .size:           4
        .value_kind:     by_value
      - .offset:         52
        .size:           4
        .value_kind:     by_value
      - .offset:         56
        .size:           4
        .value_kind:     by_value
      - .offset:         64
        .size:           4
        .value_kind:     hidden_block_count_x
      - .offset:         68
        .size:           4
        .value_kind:     hidden_block_count_y
      - .offset:         72
        .size:           4
        .value_kind:     hidden_block_count_z
      - .offset:         76
        .size:           2
        .value_kind:     hidden_group_size_x
      - .offset:         78
        .size:           2
        .value_kind:     hidden_group_size_y
      - .offset:         80
        .size:           2
        .value_kind:     hidden_group_size_z
      - .offset:         82
        .size:           2
        .value_kind:     hidden_remainder_x
      - .offset:         84
        .size:           2
        .value_kind:     hidden_remainder_y
      - .offset:         86
        .size:           2
        .value_kind:     hidden_remainder_z
      - .offset:         104
        .size:           8
        .value_kind:     hidden_global_offset_x
      - .offset:         112
        .size:           8
        .value_kind:     hidden_global_offset_y
      - .offset:         120
        .size:           8
        .value_kind:     hidden_global_offset_z
      - .offset:         128
        .size:           2
        .value_kind:     hidden_grid_dims
    .group_segment_fixed_size: 68
    .kernarg_segment_align: 8
    .kernarg_segment_size: 320
    .language:       OpenCL C
    .language_version:
      - 2
      - 0
    .max_flat_workgroup_size: 1024
    .name:           _Z20_residual_rms_scalarI6__halfLb0EEvPKS0_PS0_S2_PKfPT_S3_fii
    .private_segment_fixed_size: 0
    .sgpr_count:     26
    .sgpr_spill_count: 0
    .symbol:         _Z20_residual_rms_scalarI6__halfLb0EEvPKS0_PS0_S2_PKfPT_S3_fii.kd
    .uniform_work_group_size: 1
    .uses_dynamic_stack: false
    .vgpr_count:     12
    .vgpr_spill_count: 0
    .wavefront_size: 64
  - .agpr_count:     0
    .args:
      - .actual_access:  read_only
        .address_space:  global
        .offset:         0
        .size:           8
        .value_kind:     global_buffer
      - .address_space:  global
        .offset:         8
        .size:           8
        .value_kind:     global_buffer
      - .actual_access:  read_only
        .address_space:  global
        .offset:         16
        .size:           8
        .value_kind:     global_buffer
      - .actual_access:  read_only
        .address_space:  global
        .offset:         24
        .size:           8
        .value_kind:     global_buffer
      - .actual_access:  write_only
        .address_space:  global
        .offset:         32
        .size:           8
        .value_kind:     global_buffer
      - .actual_access:  write_only
        .address_space:  global
        .offset:         40
        .size:           8
        .value_kind:     global_buffer
      - .offset:         48
        .size:           4
        .value_kind:     by_value
      - .offset:         52
        .size:           4
        .value_kind:     by_value
      - .offset:         56
        .size:           4
        .value_kind:     by_value
      - .offset:         64
        .size:           4
        .value_kind:     hidden_block_count_x
      - .offset:         68
        .size:           4
        .value_kind:     hidden_block_count_y
      - .offset:         72
        .size:           4
        .value_kind:     hidden_block_count_z
      - .offset:         76
        .size:           2
        .value_kind:     hidden_group_size_x
      - .offset:         78
        .size:           2
        .value_kind:     hidden_group_size_y
      - .offset:         80
        .size:           2
        .value_kind:     hidden_group_size_z
      - .offset:         82
        .size:           2
        .value_kind:     hidden_remainder_x
      - .offset:         84
        .size:           2
        .value_kind:     hidden_remainder_y
      - .offset:         86
        .size:           2
        .value_kind:     hidden_remainder_z
      - .offset:         104
        .size:           8
        .value_kind:     hidden_global_offset_x
      - .offset:         112
        .size:           8
        .value_kind:     hidden_global_offset_y
      - .offset:         120
        .size:           8
        .value_kind:     hidden_global_offset_z
      - .offset:         128
        .size:           2
        .value_kind:     hidden_grid_dims
    .group_segment_fixed_size: 32836
    .kernarg_segment_align: 8
    .kernarg_segment_size: 320
    .language:       OpenCL C
    .language_version:
      - 2
      - 0
    .max_flat_workgroup_size: 1024
    .name:           _Z24_residual_rms_vectorizedItLb1EEvPK6__halfPS0_S2_PKfPT_S3_fii
    .private_segment_fixed_size: 0
    .sgpr_count:     36
    .sgpr_spill_count: 0
    .symbol:         _Z24_residual_rms_vectorizedItLb1EEvPK6__halfPS0_S2_PKfPT_S3_fii.kd
    .uniform_work_group_size: 1
    .uses_dynamic_stack: false
    .vgpr_count:     33
    .vgpr_spill_count: 0
    .wavefront_size: 64
  - .agpr_count:     0
    .args:
      - .actual_access:  read_only
        .address_space:  global
        .offset:         0
        .size:           8
        .value_kind:     global_buffer
      - .address_space:  global
        .offset:         8
        .size:           8
        .value_kind:     global_buffer
      - .actual_access:  read_only
        .address_space:  global
        .offset:         16
        .size:           8
        .value_kind:     global_buffer
      - .actual_access:  read_only
        .address_space:  global
        .offset:         24
        .size:           8
        .value_kind:     global_buffer
      - .actual_access:  write_only
        .address_space:  global
        .offset:         32
        .size:           8
        .value_kind:     global_buffer
      - .actual_access:  write_only
        .address_space:  global
        .offset:         40
        .size:           8
        .value_kind:     global_buffer
      - .offset:         48
        .size:           4
        .value_kind:     by_value
      - .offset:         52
        .size:           4
        .value_kind:     by_value
      - .offset:         56
        .size:           4
        .value_kind:     by_value
      - .offset:         64
        .size:           4
        .value_kind:     hidden_block_count_x
      - .offset:         68
        .size:           4
        .value_kind:     hidden_block_count_y
      - .offset:         72
        .size:           4
        .value_kind:     hidden_block_count_z
      - .offset:         76
        .size:           2
        .value_kind:     hidden_group_size_x
      - .offset:         78
        .size:           2
        .value_kind:     hidden_group_size_y
      - .offset:         80
        .size:           2
        .value_kind:     hidden_group_size_z
      - .offset:         82
        .size:           2
        .value_kind:     hidden_remainder_x
      - .offset:         84
        .size:           2
        .value_kind:     hidden_remainder_y
      - .offset:         86
        .size:           2
        .value_kind:     hidden_remainder_z
      - .offset:         104
        .size:           8
        .value_kind:     hidden_global_offset_x
      - .offset:         112
        .size:           8
        .value_kind:     hidden_global_offset_y
      - .offset:         120
        .size:           8
        .value_kind:     hidden_global_offset_z
      - .offset:         128
        .size:           2
        .value_kind:     hidden_grid_dims
    .group_segment_fixed_size: 68
    .kernarg_segment_align: 8
    .kernarg_segment_size: 320
    .language:       OpenCL C
    .language_version:
      - 2
      - 0
    .max_flat_workgroup_size: 1024
    .name:           _Z20_residual_rms_scalarIhLb1EEvPK6__halfPS0_S2_PKfPT_S3_fii
    .private_segment_fixed_size: 0
    .sgpr_count:     35
    .sgpr_spill_count: 0
    .symbol:         _Z20_residual_rms_scalarIhLb1EEvPK6__halfPS0_S2_PKfPT_S3_fii.kd
    .uniform_work_group_size: 1
    .uses_dynamic_stack: false
    .vgpr_count:     25
    .vgpr_spill_count: 0
    .wavefront_size: 64
amdhsa.target:   amdgcn-amd-amdhsa--gfx90a
amdhsa.version:
  - 1
  - 2
...

	.end_amdgpu_metadata
